;; amdgpu-corpus repo=ROCm/aiter kind=harvested arch=n/a opt=n/a

/root/src/amdgpu-assembly/repos/ROCm__aiter/hsa/gfx950/fmoe_2stages/fmoe_stage1_bf16_pertokenFp8_doweight_g1u1_32x512_pf3.co:	file format elf64-amdgpu

Disassembly of section .text:

0000000000002a00 <_ZN5aiter53fmoe_stage1_bf16_pertokenFp8_doweight_g1u1_32x512_pf3E>:
	s_and_b32 s1, s1, 0xffff                                   // 000000002A00: 8601FF01 0000FFFF
	s_load_dwordx2 s[8:9], s[0:1], 0x0                         // 000000002A08: C0060200 00000000
	s_load_dwordx2 s[20:21], s[0:1], 0x10                      // 000000002A10: C0060500 00000010
	s_load_dwordx2 s[24:25], s[0:1], 0x20                      // 000000002A18: C0060600 00000020
	s_load_dwordx2 s[48:49], s[0:1], 0x30                      // 000000002A20: C0060C00 00000030
	s_load_dwordx2 s[28:29], s[0:1], 0x40                      // 000000002A28: C0060700 00000040
	s_load_dwordx2 s[32:33], s[0:1], 0x50                      // 000000002A30: C0060800 00000050
	s_load_dwordx2 s[36:37], s[0:1], 0x60                      // 000000002A38: C0060900 00000060
	s_load_dwordx2 s[12:13], s[0:1], 0x70                      // 000000002A40: C0060300 00000070
	s_load_dwordx2 s[44:45], s[0:1], 0x80                      // 000000002A48: C0060B00 00000080
	s_mov_b32 s89, 0                                           // 000000002A50: BED90080
	s_load_dword s64, s[0:1], 0x90                             // 000000002A54: C0021000 00000090
	s_load_dword s65, s[0:1], 0xa0                             // 000000002A5C: C0021040 000000A0
	s_load_dword s66, s[0:1], 0xb0                             // 000000002A64: C0021080 000000B0
	s_load_dword s67, s[0:1], 0xc0                             // 000000002A6C: C00210C0 000000C0
	s_load_dword s68, s[0:1], 0xd0                             // 000000002A74: C0021100 000000D0
	s_load_dword s69, s[0:1], 0xe0                             // 000000002A7C: C0021140 000000E0
	s_load_dword s71, s[0:1], 0xf0                             // 000000002A84: C00211C0 000000F0
	s_load_dword s72, s[0:1], 0x100                            // 000000002A8C: C0021200 00000100
	s_load_dword s74, s[0:1], 0x110                            // 000000002A94: C0021280 00000110
	s_load_dword s76, s[0:1], 0x120                            // 000000002A9C: C0021300 00000120
	s_load_dword s56, s[0:1], 0x130                            // 000000002AA4: C0020E00 00000130
	s_load_dword s88, s[0:1], 0x140                            // 000000002AAC: C0021600 00000140
	s_load_dword s89, s[0:1], 0x150                            // 000000002AB4: C0021640 00000150
	s_load_dwordx2 s[40:41], s[0:1], 0x160                     // 000000002ABC: C0060A00 00000160
	v_lshrrev_b32_e32 v1, 10, v0                               // 000000002AC4: 2002008A
	v_lshrrev_b32_e32 v2, 10, v1                               // 000000002AC8: 2004028A
	v_and_b32_e32 v2, 0x3ff, v2                                // 000000002ACC: 260404FF 000003FF
	v_and_b32_e32 v1, 0x3ff, v1                                // 000000002AD4: 260202FF 000003FF
	v_and_b32_e32 v0, 0x3ff, v0                                // 000000002ADC: 260000FF 000003FF
	v_lshrrev_b32_e32 v3, 6, v0                                // 000000002AE4: 20060086
	v_and_b32_e32 v0, 63, v0                                   // 000000002AE8: 260000BF
	s_mov_b32 s2, s2                                           // 000000002AEC: BE820002
	s_mov_b32 s3, s3                                           // 000000002AF0: BE830003
	s_mov_b32 s4, s4                                           // 000000002AF4: BE840004
	v_readfirstlane_b32 s7, v3                                 // 000000002AF8: 7E0E0503
	s_waitcnt lgkmcnt(0)                                       // 000000002AFC: BF8CC07F
	s_and_b32 s49, s49, 0xffff                                 // 000000002B00: 8631FF31 0000FFFF
	s_load_dword s48, s[48:49], 0x0                            // 000000002B08: C0020C18 00000000
	s_and_b32 s45, s45, 0xffff                                 // 000000002B10: 862DFF2D 0000FFFF
	s_and_b32 s9, s9, 0xffff                                   // 000000002B18: 8609FF09 0000FFFF
	s_mul_i32 s60, s66, s68                                    // 000000002B20: 923C4442
	s_mul_i32 s61, s66, 4                                      // 000000002B24: 923D8442
	s_mov_b32 s22, s60                                         // 000000002B28: BE96003C
	s_mov_b32 s26, -16                                         // 000000002B2C: BE9A00D0
	s_mov_b32 s30, s61                                         // 000000002B30: BE9E003D
	s_mov_b32 s14, 0x80                                        // 000000002B34: BE8E00FF 00000080
	s_mov_b32 s38, -16                                         // 000000002B3C: BEA600D0
	s_mov_b32 s10, -16                                         // 000000002B40: BE8A00D0
	s_mov_b32 s34, 0x800                                       // 000000002B44: BEA200FF 00000800
	s_mov_b32 s23, 0x20000                                     // 000000002B4C: BE9700FF 00020000
	s_mov_b32 s27, 0x20000                                     // 000000002B54: BE9B00FF 00020000
	s_mov_b32 s31, 0x20000                                     // 000000002B5C: BE9F00FF 00020000
	s_mov_b32 s35, 0x20000                                     // 000000002B64: BEA300FF 00020000
	s_mov_b32 s15, 0x20000                                     // 000000002B6C: BE8F00FF 00020000
	s_mov_b32 s39, 0x20000                                     // 000000002B74: BEA700FF 00020000
	s_mov_b32 s11, 0x20000                                     // 000000002B7C: BE8B00FF 00020000
	s_and_b32 s21, s21, 0xffff                                 // 000000002B84: 8615FF15 0000FFFF
	s_and_b32 s25, s25, 0xffff                                 // 000000002B8C: 8619FF19 0000FFFF
	s_and_b32 s29, s29, 0xffff                                 // 000000002B94: 861DFF1D 0000FFFF
	s_and_b32 s33, s33, 0xffff                                 // 000000002B9C: 8621FF21 0000FFFF
	s_and_b32 s13, s13, 0xffff                                 // 000000002BA4: 860DFF0D 0000FFFF
	s_and_b32 s37, s37, 0xffff                                 // 000000002BAC: 8625FF25 0000FFFF
	s_or_b32 s21, s21, 0x40000                                 // 000000002BB4: 8715FF15 00040000
	s_or_b32 s25, s25, 0x40000                                 // 000000002BBC: 8719FF19 00040000
	s_or_b32 s29, s29, 0x40000                                 // 000000002BC4: 871DFF1D 00040000
	s_or_b32 s33, s33, 0x40000                                 // 000000002BCC: 8721FF21 00040000
	s_or_b32 s13, s13, 0x40000                                 // 000000002BD4: 870DFF0D 00040000
	s_or_b32 s37, s37, 0x40000                                 // 000000002BDC: 8725FF25 00040000
	s_mov_b32 s42, -16                                         // 000000002BE4: BEAA00D0
	s_mov_b32 s43, 0x20000                                     // 000000002BE8: BEAB00FF 00020000
	s_and_b32 s41, s41, 0xffff                                 // 000000002BF0: 8629FF29 0000FFFF
	s_or_b32 s41, s41, 0x40000                                 // 000000002BF8: 8729FF29 00040000
	v_accvgpr_write_b32 a223, 0                                // 000000002C00: D3D940DF 18000080
	v_mov_b32_e32 v181, 0                                      // 000000002C08: 7F6A0280
	s_waitcnt lgkmcnt(0)                                       // 000000002C0C: BF8CC07F
	s_mul_i32 s60, s3, 32                                      // 000000002C10: 923CA003
	s_cmp_lt_i32 s60, s48                                      // 000000002C14: BF04303C
	s_cbranch_scc0 label_2E00                                  // 000000002C18: BF842D76
	s_mov_b32 s80, 0                                           // 000000002C1C: BED00080
	s_lshr_b32 s81, s64, s88                                   // 000000002C20: 8F515840
	s_mul_i32 s60, s3, 4                                       // 000000002C24: 923C8403
	s_add_u32 s44, s60, s44                                    // 000000002C28: 802C2C3C
	s_addc_u32 s45, 0, s45                                     // 000000002C2C: 822D2D80
	s_load_dword s5, s[44:45], 0x0                             // 000000002C30: C0020156 00000000
	s_mul_i32 s60, s3, 32                                      // 000000002C38: 923CA003
	s_mul_i32 s60, 4, s60                                      // 000000002C3C: 923C3C84
	s_add_u32 s12, s60, s12                                    // 000000002C40: 800C0C3C
	s_addc_u32 s13, 0, s13                                     // 000000002C44: 820D0D80
	v_and_b32_e32 v4, 15, v0                                   // 000000002C48: 2608008F
	v_lshlrev_b32_e32 v4, 2, v4                                // 000000002C4C: 24080882
	buffer_load_dword v31, v4, s[12:15], 0 offen               // 000000002C50: E0501000 80031F04
	v_add_u32_e32 v4, 64, v4                                   // 000000002C58: 680808C0
	buffer_load_dword v32, v4, s[12:15], 0 offen               // 000000002C5C: E0501000 80032004
	v_add_u32_e32 v4, 64, v4                                   // 000000002C64: 680808C0
	s_mul_i32 s60, 4, s7                                       // 000000002C68: 923C0784
	v_lshlrev_b32_e32 v4, 4, v0                                // 000000002C6C: 24080084
	v_add_u32_e32 v4, s60, v4                                  // 000000002C70: 6808083C
	buffer_load_dword v3, v4, s[12:15], 0 offen                // 000000002C74: E0501000 80030304
	v_mov_b32_e32 v52, 0                                       // 000000002C7C: 7E680280
	v_mov_b32_e32 v116, 0                                      // 000000002C80: 7EE80280
	v_mov_b32_e32 v53, 0                                       // 000000002C84: 7E6A0280
	v_mov_b32_e32 v117, 0                                      // 000000002C88: 7EEA0280
	v_mov_b32_e32 v54, 0                                       // 000000002C8C: 7E6C0280
	v_mov_b32_e32 v118, 0                                      // 000000002C90: 7EEC0280
	v_mov_b32_e32 v55, 0                                       // 000000002C94: 7E6E0280
	v_mov_b32_e32 v119, 0                                      // 000000002C98: 7EEE0280
	v_mov_b32_e32 v56, 0                                       // 000000002C9C: 7E700280
	v_mov_b32_e32 v120, 0                                      // 000000002CA0: 7EF00280
	v_mov_b32_e32 v57, 0                                       // 000000002CA4: 7E720280
	v_mov_b32_e32 v121, 0                                      // 000000002CA8: 7EF20280
	v_mov_b32_e32 v58, 0                                       // 000000002CAC: 7E740280
	v_mov_b32_e32 v122, 0                                      // 000000002CB0: 7EF40280
	v_mov_b32_e32 v59, 0                                       // 000000002CB4: 7E760280
	v_mov_b32_e32 v123, 0                                      // 000000002CB8: 7EF60280
	v_mov_b32_e32 v60, 0                                       // 000000002CBC: 7E780280
	v_mov_b32_e32 v124, 0                                      // 000000002CC0: 7EF80280
	v_mov_b32_e32 v61, 0                                       // 000000002CC4: 7E7A0280
	v_mov_b32_e32 v125, 0                                      // 000000002CC8: 7EFA0280
	v_mov_b32_e32 v62, 0                                       // 000000002CCC: 7E7C0280
	v_mov_b32_e32 v126, 0                                      // 000000002CD0: 7EFC0280
	v_mov_b32_e32 v63, 0                                       // 000000002CD4: 7E7E0280
	v_mov_b32_e32 v127, 0                                      // 000000002CD8: 7EFE0280
	v_mov_b32_e32 v64, 0                                       // 000000002CDC: 7E800280
	v_mov_b32_e32 v128, 0                                      // 000000002CE0: 7F000280
	v_mov_b32_e32 v65, 0                                       // 000000002CE4: 7E820280
	v_mov_b32_e32 v129, 0                                      // 000000002CE8: 7F020280
	v_mov_b32_e32 v66, 0                                       // 000000002CEC: 7E840280
	v_mov_b32_e32 v130, 0                                      // 000000002CF0: 7F040280
	v_mov_b32_e32 v67, 0                                       // 000000002CF4: 7E860280
	v_mov_b32_e32 v131, 0                                      // 000000002CF8: 7F060280
	v_mov_b32_e32 v68, 0                                       // 000000002CFC: 7E880280
	v_mov_b32_e32 v132, 0                                      // 000000002D00: 7F080280
	v_mov_b32_e32 v69, 0                                       // 000000002D04: 7E8A0280
	v_mov_b32_e32 v133, 0                                      // 000000002D08: 7F0A0280
	v_mov_b32_e32 v70, 0                                       // 000000002D0C: 7E8C0280
	v_mov_b32_e32 v134, 0                                      // 000000002D10: 7F0C0280
	v_mov_b32_e32 v71, 0                                       // 000000002D14: 7E8E0280
	v_mov_b32_e32 v135, 0                                      // 000000002D18: 7F0E0280
	v_mov_b32_e32 v72, 0                                       // 000000002D1C: 7E900280
	v_mov_b32_e32 v136, 0                                      // 000000002D20: 7F100280
	v_mov_b32_e32 v73, 0                                       // 000000002D24: 7E920280
	v_mov_b32_e32 v137, 0                                      // 000000002D28: 7F120280
	v_mov_b32_e32 v74, 0                                       // 000000002D2C: 7E940280
	v_mov_b32_e32 v138, 0                                      // 000000002D30: 7F140280
	v_mov_b32_e32 v75, 0                                       // 000000002D34: 7E960280
	v_mov_b32_e32 v139, 0                                      // 000000002D38: 7F160280
	v_mov_b32_e32 v76, 0                                       // 000000002D3C: 7E980280
	v_mov_b32_e32 v140, 0                                      // 000000002D40: 7F180280
	v_mov_b32_e32 v77, 0                                       // 000000002D44: 7E9A0280
	v_mov_b32_e32 v141, 0                                      // 000000002D48: 7F1A0280
	v_mov_b32_e32 v78, 0                                       // 000000002D4C: 7E9C0280
	v_mov_b32_e32 v142, 0                                      // 000000002D50: 7F1C0280
	v_mov_b32_e32 v79, 0                                       // 000000002D54: 7E9E0280
	v_mov_b32_e32 v143, 0                                      // 000000002D58: 7F1E0280
	v_mov_b32_e32 v80, 0                                       // 000000002D5C: 7EA00280
	v_mov_b32_e32 v144, 0                                      // 000000002D60: 7F200280
	v_mov_b32_e32 v81, 0                                       // 000000002D64: 7EA20280
	v_mov_b32_e32 v145, 0                                      // 000000002D68: 7F220280
	v_mov_b32_e32 v82, 0                                       // 000000002D6C: 7EA40280
	v_mov_b32_e32 v146, 0                                      // 000000002D70: 7F240280
	v_mov_b32_e32 v83, 0                                       // 000000002D74: 7EA60280
	v_mov_b32_e32 v147, 0                                      // 000000002D78: 7F260280
	v_mov_b32_e32 v84, 0                                       // 000000002D7C: 7EA80280
	v_mov_b32_e32 v148, 0                                      // 000000002D80: 7F280280
	v_mov_b32_e32 v85, 0                                       // 000000002D84: 7EAA0280
	v_mov_b32_e32 v149, 0                                      // 000000002D88: 7F2A0280
	v_mov_b32_e32 v86, 0                                       // 000000002D8C: 7EAC0280
	v_mov_b32_e32 v150, 0                                      // 000000002D90: 7F2C0280
	v_mov_b32_e32 v87, 0                                       // 000000002D94: 7EAE0280
	v_mov_b32_e32 v151, 0                                      // 000000002D98: 7F2E0280
	v_mov_b32_e32 v88, 0                                       // 000000002D9C: 7EB00280
	v_mov_b32_e32 v152, 0                                      // 000000002DA0: 7F300280
	v_mov_b32_e32 v89, 0                                       // 000000002DA4: 7EB20280
	v_mov_b32_e32 v153, 0                                      // 000000002DA8: 7F320280
	v_mov_b32_e32 v90, 0                                       // 000000002DAC: 7EB40280
	v_mov_b32_e32 v154, 0                                      // 000000002DB0: 7F340280
	v_mov_b32_e32 v91, 0                                       // 000000002DB4: 7EB60280
	v_mov_b32_e32 v155, 0                                      // 000000002DB8: 7F360280
	v_mov_b32_e32 v92, 0                                       // 000000002DBC: 7EB80280
	v_mov_b32_e32 v156, 0                                      // 000000002DC0: 7F380280
	v_mov_b32_e32 v93, 0                                       // 000000002DC4: 7EBA0280
	v_mov_b32_e32 v157, 0                                      // 000000002DC8: 7F3A0280
	v_mov_b32_e32 v94, 0                                       // 000000002DCC: 7EBC0280
	v_mov_b32_e32 v158, 0                                      // 000000002DD0: 7F3C0280
	v_mov_b32_e32 v95, 0                                       // 000000002DD4: 7EBE0280
	v_mov_b32_e32 v159, 0                                      // 000000002DD8: 7F3E0280
	v_mov_b32_e32 v96, 0                                       // 000000002DDC: 7EC00280
	v_mov_b32_e32 v160, 0                                      // 000000002DE0: 7F400280
	v_mov_b32_e32 v97, 0                                       // 000000002DE4: 7EC20280
	v_mov_b32_e32 v161, 0                                      // 000000002DE8: 7F420280
	v_mov_b32_e32 v98, 0                                       // 000000002DEC: 7EC40280
	v_mov_b32_e32 v162, 0                                      // 000000002DF0: 7F440280
	v_mov_b32_e32 v99, 0                                       // 000000002DF4: 7EC60280
	v_mov_b32_e32 v163, 0                                      // 000000002DF8: 7F460280
	v_mov_b32_e32 v100, 0                                      // 000000002DFC: 7EC80280
	v_mov_b32_e32 v164, 0                                      // 000000002E00: 7F480280
	v_mov_b32_e32 v101, 0                                      // 000000002E04: 7ECA0280
	v_mov_b32_e32 v165, 0                                      // 000000002E08: 7F4A0280
	v_mov_b32_e32 v102, 0                                      // 000000002E0C: 7ECC0280
	v_mov_b32_e32 v166, 0                                      // 000000002E10: 7F4C0280
	v_mov_b32_e32 v103, 0                                      // 000000002E14: 7ECE0280
	v_mov_b32_e32 v167, 0                                      // 000000002E18: 7F4E0280
	v_mov_b32_e32 v104, 0                                      // 000000002E1C: 7ED00280
	v_mov_b32_e32 v168, 0                                      // 000000002E20: 7F500280
	v_mov_b32_e32 v105, 0                                      // 000000002E24: 7ED20280
	v_mov_b32_e32 v169, 0                                      // 000000002E28: 7F520280
	v_mov_b32_e32 v106, 0                                      // 000000002E2C: 7ED40280
	v_mov_b32_e32 v170, 0                                      // 000000002E30: 7F540280
	v_mov_b32_e32 v107, 0                                      // 000000002E34: 7ED60280
	v_mov_b32_e32 v171, 0                                      // 000000002E38: 7F560280
	v_mov_b32_e32 v108, 0                                      // 000000002E3C: 7ED80280
	v_mov_b32_e32 v172, 0                                      // 000000002E40: 7F580280
	v_mov_b32_e32 v109, 0                                      // 000000002E44: 7EDA0280
	v_mov_b32_e32 v173, 0                                      // 000000002E48: 7F5A0280
	v_mov_b32_e32 v110, 0                                      // 000000002E4C: 7EDC0280
	v_mov_b32_e32 v174, 0                                      // 000000002E50: 7F5C0280
	v_mov_b32_e32 v111, 0                                      // 000000002E54: 7EDE0280
	v_mov_b32_e32 v175, 0                                      // 000000002E58: 7F5E0280
	v_mov_b32_e32 v112, 0                                      // 000000002E5C: 7EE00280
	v_mov_b32_e32 v176, 0                                      // 000000002E60: 7F600280
	v_mov_b32_e32 v113, 0                                      // 000000002E64: 7EE20280
	v_mov_b32_e32 v177, 0                                      // 000000002E68: 7F620280
	v_mov_b32_e32 v114, 0                                      // 000000002E6C: 7EE40280
	v_mov_b32_e32 v178, 0                                      // 000000002E70: 7F640280
	v_mov_b32_e32 v115, 0                                      // 000000002E74: 7EE60280
	v_mov_b32_e32 v179, 0                                      // 000000002E78: 7F660280
	s_mul_i32 s60, s2, 0x400                                   // 000000002E7C: 923CFF02 00000400
	s_cmp_eq_u32 s88, 0                                        // 000000002E84: BF068058
	s_cselect_b32 s61, 1, 2                                    // 000000002E88: 853D8281
	s_mul_i32 s60, s60, s61                                    // 000000002E8C: 923C3D3C
	s_mov_b32 s90, s8                                          // 000000002E90: BEDA0008
	s_mov_b32 s91, s9                                          // 000000002E94: BEDB0009
	s_add_u32 s8, s60, s8                                      // 000000002E98: 8008083C
	s_addc_u32 s9, 0, s9                                       // 000000002E9C: 82090980
	v_lshrrev_b32_e32 v4, 4, v0                                // 000000002EA0: 20080084
	v_mul_lo_u32 v20, 34, v4                                   // 000000002EA4: D2850014 000208A2
	v_and_b32_e32 v4, 15, v0                                   // 000000002EAC: 2608008F
	v_mul_lo_u32 v5, 2, v4                                     // 000000002EB0: D2850005 00020882
	v_add_u32_e32 v20, v5, v20                                 // 000000002EB8: 68282905
	s_mul_i32 s60, s7, 0x88                                    // 000000002EBC: 923CFF07 00000088
	v_add_u32_e32 v20, s60, v20                                // 000000002EC4: 6828283C
	v_lshlrev_b32_e32 v20, 2, v20                              // 000000002EC8: 24282882
	v_and_b32_e32 v4, 31, v0                                   // 000000002ECC: 2608009F
	v_lshrrev_b32_e32 v4, 1, v4                                // 000000002ED0: 20080881
	v_mul_lo_u32 v21, 34, v4                                   // 000000002ED4: D2850015 000208A2
	v_lshrrev_b32_e32 v4, 5, v0                                // 000000002EDC: 20080085
	v_mul_lo_u32 v4, 8, v4                                     // 000000002EE0: D2850004 00020888
	v_add_u32_e32 v21, v21, v4                                 // 000000002EE8: 682A0915
	v_and_b32_e32 v5, 1, v0                                    // 000000002EEC: 260A0081
	v_add_u32_e32 v21, v5, v21                                 // 000000002EF0: 682A2B05
	s_mul_i32 s60, s7, 2                                       // 000000002EF4: 923C8207
	v_add_u32_e32 v21, s60, v21                                // 000000002EF8: 682A2A3C
	v_lshlrev_b32_e32 v21, 2, v21                              // 000000002EFC: 242A2A82
	s_mul_i32 s60, s7, 0x420                                   // 000000002F00: 923CFF07 00000420
	s_add_u32 s48, 0, s60                                      // 000000002F08: 80303C80
	s_add_u32 s49, 0x1080, s48                                 // 000000002F0C: 803130FF 00001080
	s_add_u32 s50, 0x1080, s49                                 // 000000002F14: 803231FF 00001080
	v_lshrrev_b32_e32 v4, 4, v0                                // 000000002F1C: 20080084
	v_lshlrev_b32_e32 v5, 2, v4                                // 000000002F20: 240A0882
	v_and_b32_e32 v4, 15, v0                                   // 000000002F24: 2608008F
	v_lshrrev_b32_e32 v6, 2, v4                                // 000000002F28: 200C0882
	v_lshlrev_b32_e32 v6, 5, v6                                // 000000002F2C: 240C0C85
	v_add_u32_e32 v5, v6, v5                                   // 000000002F30: 680A0B06
	v_and_b32_e32 v4, 3, v0                                    // 000000002F34: 26080083
	v_mul_u32_u24_e32 v6, 0x108, v4                            // 000000002F38: 100C08FF 00000108
	v_add_u32_e32 v5, v6, v5                                   // 000000002F40: 680A0B06
	v_lshlrev_b32_e32 v2, 2, v5                                // 000000002F44: 24040A82
	s_waitcnt lgkmcnt(0)                                       // 000000002F48: BF8CC07F
	s_mul_i32 s60, s2, 0x200                                   // 000000002F4C: 923CFF02 00000200
	s_mul_i32 s60, s60, s69                                    // 000000002F54: 923C453C
	s_mul_i32 s61, s5, s72                                     // 000000002F58: 923D4805
	s_add_u32 s60, s61, s60                                    // 000000002F5C: 803C3C3D
	s_add_u32 s24, s60, s24                                    // 000000002F60: 8018183C
	s_addc_u32 s25, 0, s25                                     // 000000002F64: 82191980
	s_lshr_b32 s60, s64, s88                                   // 000000002F68: 8F3C5840
	s_mul_i32 s60, s4, s60                                     // 000000002F6C: 923C3C04
	s_lshr_b32 s60, s60, 7                                     // 000000002F70: 8F3C873C
	s_mul_i32 s60, s60, 0x800                                  // 000000002F74: 923CFF3C 00000800
	s_add_u32 s24, s60, s24                                    // 000000002F7C: 8018183C
	s_addc_u32 s25, 0, s25                                     // 000000002F80: 82191980
	s_lshr_b32 s60, s69, s88                                   // 000000002F84: 8F3C5845
	s_mul_i32 s60, s4, s60                                     // 000000002F88: 923C3C04
	s_add_u32 s20, s60, s20                                    // 000000002F8C: 8014143C
	s_addc_u32 s21, 0, s21                                     // 000000002F90: 82151580
	s_mul_i32 s60, s7, 16                                      // 000000002F94: 923C9007
	s_mul_i32 s60, s60, s69                                    // 000000002F98: 923C453C
	v_lshlrev_b32_e32 v43, 4, v0                               // 000000002F9C: 24560084
	v_add_u32_e32 v43, s60, v43                                // 000000002FA0: 6856563C
	s_mul_i32 s60, 64, s69                                     // 000000002FA4: 923C45C0
	v_add_u32_e32 v44, s60, v43                                // 000000002FA8: 6858563C
	v_add_u32_e32 v45, s60, v44                                // 000000002FAC: 685A583C
	v_add_u32_e32 v46, s60, v45                                // 000000002FB0: 685C5A3C
	v_add_u32_e32 v47, s60, v46                                // 000000002FB4: 685E5C3C
	v_add_u32_e32 v48, s60, v47                                // 000000002FB8: 68605E3C
	v_add_u32_e32 v49, s60, v48                                // 000000002FBC: 6862603C
	v_add_u32_e32 v50, s60, v49                                // 000000002FC0: 6864623C
	s_mov_b32 s84, s24                                         // 000000002FC4: BED40018
	s_mov_b32 s85, s25                                         // 000000002FC8: BED50019
	s_mov_b32 s86, s26                                         // 000000002FCC: BED6001A
	s_mov_b32 s87, s27                                         // 000000002FD0: BED7001B
	s_mul_i32 s60, s69, s65                                    // 000000002FD4: 923C4145
	s_add_u32 s84, s60, s84                                    // 000000002FD8: 8054543C
	s_addc_u32 s85, 0, s85                                     // 000000002FDC: 82555580
	v_lshrrev_b32_e32 v4, 4, v0                                // 000000002FE0: 20080084
	v_lshlrev_b32_e32 v5, 2, v4                                // 000000002FE4: 240A0882
	v_and_b32_e32 v4, 15, v0                                   // 000000002FE8: 2608008F
	v_lshrrev_b32_e32 v6, 2, v4                                // 000000002FEC: 200C0882
	v_lshlrev_b32_e32 v6, 6, v6                                // 000000002FF0: 240C0C86
	v_add_u32_e32 v5, v6, v5                                   // 000000002FF4: 680A0B06
	v_and_b32_e32 v4, 3, v0                                    // 000000002FF8: 26080083
	v_add_u32_e32 v5, v4, v5                                   // 000000002FFC: 680A0B04
	v_lshlrev_b32_e32 v22, 2, v5                               // 000000003000: 242C0A82
	v_add_u32_e32 v23, 0x400, v22                              // 000000003004: 682E2CFF 00000400
	s_mul_i32 s60, s7, 16                                      // 00000000300C: 923C9007
	s_mul_i32 s60, s60, 4                                      // 000000003010: 923C843C
	v_add_u32_e32 v22, s60, v22                                // 000000003014: 682C2C3C
	v_add_u32_e32 v23, s60, v23                                // 000000003018: 682E2E3C
	s_mul_i32 s60, s2, 0x200                                   // 00000000301C: 923CFF02 00000200
	s_mul_i32 s60, s60, 4                                      // 000000003024: 923C843C
	s_mul_i32 s61, s5, s74                                     // 000000003028: 923D4A05
	s_add_u32 s61, s61, s60                                    // 00000000302C: 803D3C3D
	s_add_u32 s32, s61, s32                                    // 000000003030: 8020203D
	s_addc_u32 s33, 0, s33                                     // 000000003034: 82212180
	s_mov_b32 s57, 0x80                                        // 000000003038: BEB900FF 00000080
	s_mov_b32 s58, 0x800                                       // 000000003040: BEBA00FF 00000800
	s_mov_b32 s83, s58                                         // 000000003048: BED3003A
	s_mov_b32 s52, 0x7060302                                   // 00000000304C: BEB400FF 07060302
	s_mov_b32 s53, 0x400                                       // 000000003054: BEB500FF 00000400
	s_mov_b32 s54, 0x40100                                     // 00000000305C: BEB600FF 00040100
	s_mov_b32 s55, 0x4020100                                   // 000000003064: BEB700FF 04020100
	s_mov_b32 s6, 0x3fb8aa3b                                   // 00000000306C: BE8600FF 3FB8AA3B
	s_mov_b32 s78, 0xbd92220c                                  // 000000003074: BECE00FF BD92220C
	s_mov_b32 s79, 0xbd92220c                                  // 00000000307C: BECF00FF BD92220C
	s_mov_b32 m0, s48                                          // 000000003084: BEFC0030
	v_mov_b32_e32 v1, 0xbfcc4231                               // 000000003088: 7E0202FF BFCC4231
	v_mov_b32_e32 v17, 0xffff0000                              // 000000003090: 7E2202FF FFFF0000
	v_mov_b32_e32 v18, 0x7fff0000                              // 000000003098: 7E2402FF 7FFF0000
	v_mov_b32_e32 v19, 0x7fff                                  // 0000000030A0: 7E2602FF 00007FFF
	s_waitcnt vmcnt(0) expcnt(0) lgkmcnt(0)                    // 0000000030A8: BF8C0000
	s_mul_i32 s60, s3, 32                                      // 0000000030AC: 923CA003
	s_mul_i32 s60, 4, s60                                      // 0000000030B0: 923C3C84
	s_add_u32 s40, s60, s40                                    // 0000000030B4: 8028283C
	s_addc_u32 s41, 0, s41                                     // 0000000030B8: 82292980
	v_and_b32_e32 v4, 15, v0                                   // 0000000030BC: 2608008F
	v_lshlrev_b32_e32 v4, 2, v4                                // 0000000030C0: 24080882
	buffer_load_dword v180, v4, s[40:43], 0 offen              // 0000000030C4: E0501000 800AB404
	buffer_load_dword v181, v4, s[40:43], 0 offen offset:64    // 0000000030CC: E0501040 800AB504
	v_lshrrev_b32_e32 v4, 5, v0                                // 0000000030D4: 20080085
	v_xor_b32_e32 v5, 1, v4                                    // 0000000030D8: 2A0A0881
	v_readlane_b32 s82, v3, 0                                  // 0000000030DC: D2890052 00010103
	s_and_b32 s82, s82, 0xffffff                               // 0000000030E4: 8652FF52 00FFFFFF
	v_mul_lo_u32 v6, v5, s82                                   // 0000000030EC: D2850006 0000A505
	v_readlane_b32 s82, v3, 1                                  // 0000000030F4: D2890052 00010303
	s_and_b32 s82, s82, 0xffffff                               // 0000000030FC: 8652FF52 00FFFFFF
	v_mul_lo_u32 v7, v4, s82                                   // 000000003104: D2850007 0000A504
	v_add_u32_e32 v39, v6, v7                                  // 00000000310C: 684E0F06
	v_mul_lo_u32 v39, v39, s68                                 // 000000003110: D2850027 00008927
	v_readlane_b32 s82, v3, 2                                  // 000000003118: D2890052 00010503
	s_and_b32 s82, s82, 0xffffff                               // 000000003120: 8652FF52 00FFFFFF
	v_mul_lo_u32 v6, v5, s82                                   // 000000003128: D2850006 0000A505
	v_readlane_b32 s82, v3, 3                                  // 000000003130: D2890052 00010703
	s_and_b32 s82, s82, 0xffffff                               // 000000003138: 8652FF52 00FFFFFF
	v_mul_lo_u32 v7, v4, s82                                   // 000000003140: D2850007 0000A504
	v_add_u32_e32 v40, v6, v7                                  // 000000003148: 68500F06
	v_mul_lo_u32 v40, v40, s68                                 // 00000000314C: D2850028 00008928
	v_readlane_b32 s82, v3, 4                                  // 000000003154: D2890052 00010903
	s_and_b32 s82, s82, 0xffffff                               // 00000000315C: 8652FF52 00FFFFFF
	v_mul_lo_u32 v6, v5, s82                                   // 000000003164: D2850006 0000A505
	v_readlane_b32 s82, v3, 5                                  // 00000000316C: D2890052 00010B03
	s_and_b32 s82, s82, 0xffffff                               // 000000003174: 8652FF52 00FFFFFF
	v_mul_lo_u32 v7, v4, s82                                   // 00000000317C: D2850007 0000A504
	v_add_u32_e32 v41, v6, v7                                  // 000000003184: 68520F06
	v_mul_lo_u32 v41, v41, s68                                 // 000000003188: D2850029 00008929
	v_readlane_b32 s82, v3, 6                                  // 000000003190: D2890052 00010D03
	s_and_b32 s82, s82, 0xffffff                               // 000000003198: 8652FF52 00FFFFFF
	v_mul_lo_u32 v6, v5, s82                                   // 0000000031A0: D2850006 0000A505
	v_readlane_b32 s82, v3, 7                                  // 0000000031A8: D2890052 00010F03
	s_and_b32 s82, s82, 0xffffff                               // 0000000031B0: 8652FF52 00FFFFFF
	v_mul_lo_u32 v7, v4, s82                                   // 0000000031B8: D2850007 0000A504
	v_add_u32_e32 v42, v6, v7                                  // 0000000031C0: 68540F06
	v_mul_lo_u32 v42, v42, s68                                 // 0000000031C4: D285002A 0000892A
	v_and_b32_e32 v4, 31, v0                                   // 0000000031CC: 2608009F
	v_lshlrev_b32_e32 v4, 2, v4                                // 0000000031D0: 24080882
	v_add_u32_e32 v39, v39, v4                                 // 0000000031D4: 684E0927
	v_add_u32_e32 v40, v40, v4                                 // 0000000031D8: 68500928
	v_add_u32_e32 v41, v41, v4                                 // 0000000031DC: 68520929
	v_add_u32_e32 v42, v42, v4                                 // 0000000031E0: 6854092A
	v_and_b32_e32 v31, 0xffffff, v31                           // 0000000031E4: 263E3EFF 00FFFFFF
	v_lshlrev_b32_e32 v31, 2, v31                              // 0000000031EC: 243E3E82
	v_and_b32_e32 v32, 0xffffff, v32                           // 0000000031F0: 264040FF 00FFFFFF
	v_lshlrev_b32_e32 v32, 2, v32                              // 0000000031F8: 24404082
	s_lshl_b32 s3, s66, 2                                      // 0000000031FC: 8E038242
	buffer_load_dword v33, v31, s[28:31], 0 offen              // 000000003200: E0501000 8007211F
	buffer_load_dword v34, v32, s[28:31], 0 offen              // 000000003208: E0501000 80072220
	buffer_load_dword v25, v22, s[32:35], 0 offen              // 000000003210: E0501000 80081916
	buffer_load_dword v26, v23, s[32:35], 0 offen              // 000000003218: E0501000 80081A17
	s_mul_i32 s60, 4, s65                                      // 000000003220: 923C4184
	s_add_u32 s32, s60, s32                                    // 000000003224: 8020203C
	s_addc_u32 s33, 0, s33                                     // 000000003228: 82212180
	buffer_load_dword v28, v22, s[32:35], 0 offen              // 00000000322C: E0501000 80081C16
	buffer_load_dword v29, v23, s[32:35], 0 offen              // 000000003234: E0501000 80081D17
	buffer_load_dword v39, s[20:23], 0 offen lds               // 00000000323C: E0511000 80050027
	s_add_u32 m0, 0x100, s48                                   // 000000003244: 807C30FF 00000100
	buffer_load_dword v40, s[20:23], 0 offen lds               // 00000000324C: E0511000 80050028
	s_add_u32 m0, 0x200, s48                                   // 000000003254: 807C30FF 00000200
	buffer_load_dword v41, s[20:23], 0 offen lds               // 00000000325C: E0511000 80050029
	s_add_u32 m0, 0x300, s48                                   // 000000003264: 807C30FF 00000300
	buffer_load_dword v42, s[20:23], 0 offen lds               // 00000000326C: E0511000 8005002A
	s_add_u32 m0, 0, s49                                       // 000000003274: 807C3180
	s_add_u32 s20, s57, s20                                    // 000000003278: 80141439
	s_addc_u32 s21, 0, s21                                     // 00000000327C: 82151580
	buffer_load_dwordx4 a[32:35], v43, s[24:27], 0 offen       // 000000003280: E05C1000 8086202B
	buffer_load_dwordx4 a[36:39], v43, s[24:27], 0 offen offset:1024// 000000003288: E05C1400 8086242B
	buffer_load_dwordx4 a[40:43], v44, s[24:27], 0 offen       // 000000003290: E05C1000 8086282C
	buffer_load_dwordx4 a[44:47], v44, s[24:27], 0 offen offset:1024// 000000003298: E05C1400 80862C2C
	buffer_load_dwordx4 a[48:51], v45, s[24:27], 0 offen       // 0000000032A0: E05C1000 8086302D
	buffer_load_dwordx4 a[52:55], v45, s[24:27], 0 offen offset:1024// 0000000032A8: E05C1400 8086342D
	buffer_load_dwordx4 a[56:59], v46, s[24:27], 0 offen       // 0000000032B0: E05C1000 8086382E
	buffer_load_dwordx4 a[60:63], v46, s[24:27], 0 offen offset:1024// 0000000032B8: E05C1400 80863C2E
	buffer_load_dwordx4 a[64:67], v47, s[24:27], 0 offen       // 0000000032C0: E05C1000 8086402F
	buffer_load_dwordx4 a[68:71], v47, s[24:27], 0 offen offset:1024// 0000000032C8: E05C1400 8086442F
	buffer_load_dwordx4 a[72:75], v48, s[24:27], 0 offen       // 0000000032D0: E05C1000 80864830
	buffer_load_dwordx4 a[76:79], v48, s[24:27], 0 offen offset:1024// 0000000032D8: E05C1400 80864C30
	buffer_load_dwordx4 a[80:83], v49, s[24:27], 0 offen       // 0000000032E0: E05C1000 80865031
	buffer_load_dwordx4 a[84:87], v49, s[24:27], 0 offen offset:1024// 0000000032E8: E05C1400 80865431
	buffer_load_dwordx4 a[88:91], v50, s[24:27], 0 offen       // 0000000032F0: E05C1000 80865832
	buffer_load_dwordx4 a[92:95], v50, s[24:27], 0 offen offset:1024// 0000000032F8: E05C1400 80865C32
	s_add_u32 s24, s58, s24                                    // 000000003300: 8018183A
	s_addc_u32 s25, 0, s25                                     // 000000003304: 82191980
	buffer_load_dword v39, s[20:23], 0 offen lds               // 000000003308: E0511000 80050027
	s_add_u32 m0, 0x100, s49                                   // 000000003310: 807C31FF 00000100
	buffer_load_dword v40, s[20:23], 0 offen lds               // 000000003318: E0511000 80050028
	s_add_u32 m0, 0x200, s49                                   // 000000003320: 807C31FF 00000200
	;; [unrolled: 2-line block ×3, first 2 shown]
	buffer_load_dword v42, s[20:23], 0 offen lds               // 000000003338: E0511000 8005002A
	s_add_u32 m0, 0, s50                                       // 000000003340: 807C3280
	s_add_u32 s20, s57, s20                                    // 000000003344: 80141439
	s_addc_u32 s21, 0, s21                                     // 000000003348: 82151580
	buffer_load_dwordx4 a[96:99], v43, s[84:87], 0 offen       // 00000000334C: E05C1000 8095602B
	buffer_load_dwordx4 a[100:103], v43, s[84:87], 0 offen offset:1024// 000000003354: E05C1400 8095642B
	buffer_load_dwordx4 a[104:107], v44, s[84:87], 0 offen     // 00000000335C: E05C1000 8095682C
	buffer_load_dwordx4 a[108:111], v44, s[84:87], 0 offen offset:1024// 000000003364: E05C1400 80956C2C
	buffer_load_dwordx4 a[112:115], v45, s[84:87], 0 offen     // 00000000336C: E05C1000 8095702D
	buffer_load_dwordx4 a[116:119], v45, s[84:87], 0 offen offset:1024// 000000003374: E05C1400 8095742D
	buffer_load_dwordx4 a[120:123], v46, s[84:87], 0 offen     // 00000000337C: E05C1000 8095782E
	buffer_load_dwordx4 a[124:127], v46, s[84:87], 0 offen offset:1024// 000000003384: E05C1400 80957C2E
	buffer_load_dwordx4 a[128:131], v47, s[84:87], 0 offen     // 00000000338C: E05C1000 8095802F
	buffer_load_dwordx4 a[132:135], v47, s[84:87], 0 offen offset:1024// 000000003394: E05C1400 8095842F
	buffer_load_dwordx4 a[136:139], v48, s[84:87], 0 offen     // 00000000339C: E05C1000 80958830
	buffer_load_dwordx4 a[140:143], v48, s[84:87], 0 offen offset:1024// 0000000033A4: E05C1400 80958C30
	buffer_load_dwordx4 a[144:147], v49, s[84:87], 0 offen     // 0000000033AC: E05C1000 80959031
	buffer_load_dwordx4 a[148:151], v49, s[84:87], 0 offen offset:1024// 0000000033B4: E05C1400 80959431
	buffer_load_dwordx4 a[152:155], v50, s[84:87], 0 offen     // 0000000033BC: E05C1000 80959832
	buffer_load_dwordx4 a[156:159], v50, s[84:87], 0 offen offset:1024// 0000000033C4: E05C1400 80959C32
	s_add_u32 s84, s83, s84                                    // 0000000033CC: 80545453
	s_addc_u32 s85, 0, s85                                     // 0000000033D0: 82555580
	s_waitcnt vmcnt(36)                                        // 0000000033D4: BF8C8F74
	s_barrier                                                  // 0000000033D8: BF8A0000
	ds_read_b128 a[0:3], v2                                    // 0000000033DC: DBFE0000 00000002
	ds_read_b128 a[4:7], v2 offset:64                          // 0000000033E4: DBFE0040 04000002
	ds_read_b128 a[8:11], v2 offset:512                        // 0000000033EC: DBFE0200 08000002
	ds_read_b128 a[12:15], v2 offset:576                       // 0000000033F4: DBFE0240 0C000002
	s_cmp_lt_i32 s7, 2                                         // 0000000033FC: BF048207
	s_cbranch_scc0 label_1842                                  // 000000003400: BF8415BE

0000000000003404 <label_0281>:
	s_waitcnt vmcnt(20) lgkmcnt(0)                             // 000000003404: BF8C4074
	v_mfma_f32_16x16x32_fp8_fp8 v[52:55], a[32:33], a[0:1], v[52:55]// 000000003408: D3F30034 1CD20120
	v_mfma_f32_16x16x32_fp8_fp8 v[52:55], a[34:35], a[2:3], v[52:55]// 000000003410: D3F30034 1CD20522
	buffer_load_dwordx4 a[160:163], v43, s[24:27], 0 offen     // 000000003418: E05C1000 8086A02B
	v_mfma_f32_16x16x32_fp8_fp8 v[52:55], a[36:37], a[4:5], v[52:55]// 000000003420: D3F30034 1CD20924
	v_mfma_f32_16x16x32_fp8_fp8 v[52:55], a[38:39], a[6:7], v[52:55]// 000000003428: D3F30034 1CD20D26
	v_mfma_f32_16x16x32_fp8_fp8 v[60:63], a[40:41], a[0:1], v[60:63]// 000000003430: D3F3003C 1CF20128
	v_mfma_f32_16x16x32_fp8_fp8 v[60:63], a[42:43], a[2:3], v[60:63]// 000000003438: D3F3003C 1CF2052A
	buffer_load_dwordx4 a[164:167], v43, s[24:27], 0 offen offset:1024// 000000003440: E05C1400 8086A42B
	v_mfma_f32_16x16x32_fp8_fp8 v[60:63], a[44:45], a[4:5], v[60:63]// 000000003448: D3F3003C 1CF2092C
	v_mfma_f32_16x16x32_fp8_fp8 v[60:63], a[46:47], a[6:7], v[60:63]// 000000003450: D3F3003C 1CF20D2E
	v_mfma_f32_16x16x32_fp8_fp8 v[68:71], a[48:49], a[0:1], v[68:71]// 000000003458: D3F30044 1D120130
	v_mfma_f32_16x16x32_fp8_fp8 v[68:71], a[50:51], a[2:3], v[68:71]// 000000003460: D3F30044 1D120532
	buffer_load_dwordx4 a[168:171], v44, s[24:27], 0 offen     // 000000003468: E05C1000 8086A82C
	v_mfma_f32_16x16x32_fp8_fp8 v[68:71], a[52:53], a[4:5], v[68:71]// 000000003470: D3F30044 1D120934
	v_mfma_f32_16x16x32_fp8_fp8 v[68:71], a[54:55], a[6:7], v[68:71]// 000000003478: D3F30044 1D120D36
	v_mfma_f32_16x16x32_fp8_fp8 v[76:79], a[56:57], a[0:1], v[76:79]// 000000003480: D3F3004C 1D320138
	v_mfma_f32_16x16x32_fp8_fp8 v[76:79], a[58:59], a[2:3], v[76:79]// 000000003488: D3F3004C 1D32053A
	buffer_load_dwordx4 a[172:175], v44, s[24:27], 0 offen offset:1024// 000000003490: E05C1400 8086AC2C
	v_mfma_f32_16x16x32_fp8_fp8 v[76:79], a[60:61], a[4:5], v[76:79]// 000000003498: D3F3004C 1D32093C
	v_mfma_f32_16x16x32_fp8_fp8 v[76:79], a[62:63], a[6:7], v[76:79]// 0000000034A0: D3F3004C 1D320D3E
	v_mfma_f32_16x16x32_fp8_fp8 v[84:87], a[64:65], a[0:1], v[84:87]// 0000000034A8: D3F30054 1D520140
	v_mfma_f32_16x16x32_fp8_fp8 v[84:87], a[66:67], a[2:3], v[84:87]// 0000000034B0: D3F30054 1D520542
	buffer_load_dwordx4 a[176:179], v45, s[24:27], 0 offen     // 0000000034B8: E05C1000 8086B02D
	v_mfma_f32_16x16x32_fp8_fp8 v[84:87], a[68:69], a[4:5], v[84:87]// 0000000034C0: D3F30054 1D520944
	v_mfma_f32_16x16x32_fp8_fp8 v[84:87], a[70:71], a[6:7], v[84:87]// 0000000034C8: D3F30054 1D520D46
	v_mfma_f32_16x16x32_fp8_fp8 v[92:95], a[72:73], a[0:1], v[92:95]// 0000000034D0: D3F3005C 1D720148
	v_mfma_f32_16x16x32_fp8_fp8 v[92:95], a[74:75], a[2:3], v[92:95]// 0000000034D8: D3F3005C 1D72054A
	buffer_load_dwordx4 a[180:183], v45, s[24:27], 0 offen offset:1024// 0000000034E0: E05C1400 8086B42D
	v_mfma_f32_16x16x32_fp8_fp8 v[92:95], a[76:77], a[4:5], v[92:95]// 0000000034E8: D3F3005C 1D72094C
	v_mfma_f32_16x16x32_fp8_fp8 v[92:95], a[78:79], a[6:7], v[92:95]// 0000000034F0: D3F3005C 1D720D4E
	v_mfma_f32_16x16x32_fp8_fp8 v[100:103], a[80:81], a[0:1], v[100:103]// 0000000034F8: D3F30064 1D920150
	v_mfma_f32_16x16x32_fp8_fp8 v[100:103], a[82:83], a[2:3], v[100:103]// 000000003500: D3F30064 1D920552
	buffer_load_dwordx4 a[184:187], v46, s[24:27], 0 offen     // 000000003508: E05C1000 8086B82E
	v_mfma_f32_16x16x32_fp8_fp8 v[100:103], a[84:85], a[4:5], v[100:103]// 000000003510: D3F30064 1D920954
	v_mfma_f32_16x16x32_fp8_fp8 v[100:103], a[86:87], a[6:7], v[100:103]// 000000003518: D3F30064 1D920D56
	v_mfma_f32_16x16x32_fp8_fp8 v[108:111], a[88:89], a[0:1], v[108:111]// 000000003520: D3F3006C 1DB20158
	v_mfma_f32_16x16x32_fp8_fp8 v[108:111], a[90:91], a[2:3], v[108:111]// 000000003528: D3F3006C 1DB2055A
	buffer_load_dwordx4 a[188:191], v46, s[24:27], 0 offen offset:1024// 000000003530: E05C1400 8086BC2E
	v_mfma_f32_16x16x32_fp8_fp8 v[108:111], a[92:93], a[4:5], v[108:111]// 000000003538: D3F3006C 1DB2095C
	v_mfma_f32_16x16x32_fp8_fp8 v[108:111], a[94:95], a[6:7], v[108:111]// 000000003540: D3F3006C 1DB20D5E
	v_mfma_f32_16x16x32_fp8_fp8 v[56:59], a[32:33], a[8:9], v[56:59]// 000000003548: D3F30038 1CE21120
	v_mfma_f32_16x16x32_fp8_fp8 v[56:59], a[34:35], a[10:11], v[56:59]// 000000003550: D3F30038 1CE21522
	buffer_load_dwordx4 a[192:195], v47, s[24:27], 0 offen     // 000000003558: E05C1000 8086C02F
	v_mfma_f32_16x16x32_fp8_fp8 v[56:59], a[36:37], a[12:13], v[56:59]// 000000003560: D3F30038 1CE21924
	v_mfma_f32_16x16x32_fp8_fp8 v[56:59], a[38:39], a[14:15], v[56:59]// 000000003568: D3F30038 1CE21D26
	v_mfma_f32_16x16x32_fp8_fp8 v[64:67], a[40:41], a[8:9], v[64:67]// 000000003570: D3F30040 1D021128
	v_mfma_f32_16x16x32_fp8_fp8 v[64:67], a[42:43], a[10:11], v[64:67]// 000000003578: D3F30040 1D02152A
	buffer_load_dwordx4 a[196:199], v47, s[24:27], 0 offen offset:1024// 000000003580: E05C1400 8086C42F
	v_mfma_f32_16x16x32_fp8_fp8 v[64:67], a[44:45], a[12:13], v[64:67]// 000000003588: D3F30040 1D02192C
	v_mfma_f32_16x16x32_fp8_fp8 v[64:67], a[46:47], a[14:15], v[64:67]// 000000003590: D3F30040 1D021D2E
	v_mfma_f32_16x16x32_fp8_fp8 v[72:75], a[48:49], a[8:9], v[72:75]// 000000003598: D3F30048 1D221130
	v_mfma_f32_16x16x32_fp8_fp8 v[72:75], a[50:51], a[10:11], v[72:75]// 0000000035A0: D3F30048 1D221532
	buffer_load_dwordx4 a[200:203], v48, s[24:27], 0 offen     // 0000000035A8: E05C1000 8086C830
	v_mfma_f32_16x16x32_fp8_fp8 v[72:75], a[52:53], a[12:13], v[72:75]// 0000000035B0: D3F30048 1D221934
	v_mfma_f32_16x16x32_fp8_fp8 v[72:75], a[54:55], a[14:15], v[72:75]// 0000000035B8: D3F30048 1D221D36
	v_mfma_f32_16x16x32_fp8_fp8 v[80:83], a[56:57], a[8:9], v[80:83]// 0000000035C0: D3F30050 1D421138
	v_mfma_f32_16x16x32_fp8_fp8 v[80:83], a[58:59], a[10:11], v[80:83]// 0000000035C8: D3F30050 1D42153A
	buffer_load_dwordx4 a[204:207], v48, s[24:27], 0 offen offset:1024// 0000000035D0: E05C1400 8086CC30
	v_mfma_f32_16x16x32_fp8_fp8 v[80:83], a[60:61], a[12:13], v[80:83]// 0000000035D8: D3F30050 1D42193C
	v_mfma_f32_16x16x32_fp8_fp8 v[80:83], a[62:63], a[14:15], v[80:83]// 0000000035E0: D3F30050 1D421D3E
	v_mfma_f32_16x16x32_fp8_fp8 v[88:91], a[64:65], a[8:9], v[88:91]// 0000000035E8: D3F30058 1D621140
	v_mfma_f32_16x16x32_fp8_fp8 v[88:91], a[66:67], a[10:11], v[88:91]// 0000000035F0: D3F30058 1D621542
	buffer_load_dwordx4 a[208:211], v49, s[24:27], 0 offen     // 0000000035F8: E05C1000 8086D031
	v_mfma_f32_16x16x32_fp8_fp8 v[88:91], a[68:69], a[12:13], v[88:91]// 000000003600: D3F30058 1D621944
	v_mfma_f32_16x16x32_fp8_fp8 v[88:91], a[70:71], a[14:15], v[88:91]// 000000003608: D3F30058 1D621D46
	v_mfma_f32_16x16x32_fp8_fp8 v[96:99], a[72:73], a[8:9], v[96:99]// 000000003610: D3F30060 1D821148
	v_mfma_f32_16x16x32_fp8_fp8 v[96:99], a[74:75], a[10:11], v[96:99]// 000000003618: D3F30060 1D82154A
	buffer_load_dwordx4 a[212:215], v49, s[24:27], 0 offen offset:1024// 000000003620: E05C1400 8086D431
	v_mfma_f32_16x16x32_fp8_fp8 v[96:99], a[76:77], a[12:13], v[96:99]// 000000003628: D3F30060 1D82194C
	v_mfma_f32_16x16x32_fp8_fp8 v[96:99], a[78:79], a[14:15], v[96:99]// 000000003630: D3F30060 1D821D4E
	v_mfma_f32_16x16x32_fp8_fp8 v[104:107], a[80:81], a[8:9], v[104:107]// 000000003638: D3F30068 1DA21150
	v_mfma_f32_16x16x32_fp8_fp8 v[104:107], a[82:83], a[10:11], v[104:107]// 000000003640: D3F30068 1DA21552
	buffer_load_dwordx4 a[216:219], v50, s[24:27], 0 offen     // 000000003648: E05C1000 8086D832
	v_mfma_f32_16x16x32_fp8_fp8 v[104:107], a[84:85], a[12:13], v[104:107]// 000000003650: D3F30068 1DA21954
	v_mfma_f32_16x16x32_fp8_fp8 v[104:107], a[86:87], a[14:15], v[104:107]// 000000003658: D3F30068 1DA21D56
	v_mfma_f32_16x16x32_fp8_fp8 v[112:115], a[88:89], a[8:9], v[112:115]// 000000003660: D3F30070 1DC21158
	v_mfma_f32_16x16x32_fp8_fp8 v[112:115], a[90:91], a[10:11], v[112:115]// 000000003668: D3F30070 1DC2155A
	buffer_load_dwordx4 a[220:223], v50, s[24:27], 0 offen offset:1024// 000000003670: E05C1400 8086DC32
	buffer_load_dword v39, s[20:23], 0 offen lds               // 000000003678: E0511000 80050027
	s_add_u32 m0, 0x100, s50                                   // 000000003680: 807C32FF 00000100
	v_mfma_f32_16x16x32_fp8_fp8 v[112:115], a[92:93], a[12:13], v[112:115]// 000000003688: D3F30070 1DC2195C
	v_mfma_f32_16x16x32_fp8_fp8 v[112:115], a[94:95], a[14:15], v[112:115]// 000000003690: D3F30070 1DC21D5E
	buffer_load_dword v40, s[20:23], 0 offen lds               // 000000003698: E0511000 80050028
	s_add_u32 m0, 0x200, s50                                   // 0000000036A0: 807C32FF 00000200
	buffer_load_dword v41, s[20:23], 0 offen lds               // 0000000036A8: E0511000 80050029
	s_add_u32 m0, 0x300, s50                                   // 0000000036B0: 807C32FF 00000300
	buffer_load_dword v42, s[20:23], 0 offen lds               // 0000000036B8: E0511000 8005002A
	s_add_u32 m0, 0, s48                                       // 0000000036C0: 807C3080
	s_waitcnt vmcnt(20)                                        // 0000000036C4: BF8C4F74
	s_barrier                                                  // 0000000036C8: BF8A0000
	v_mfma_f32_16x16x32_fp8_fp8 v[116:119], a[96:97], a[0:1], v[116:119]// 0000000036CC: D3F30074 1DD20160
	v_mfma_f32_16x16x32_fp8_fp8 v[116:119], a[98:99], a[2:3], v[116:119]// 0000000036D4: D3F30074 1DD20562
	buffer_load_dwordx4 a[32:35], v43, s[84:87], 0 offen       // 0000000036DC: E05C1000 8095202B
	v_mfma_f32_16x16x32_fp8_fp8 v[116:119], a[100:101], a[4:5], v[116:119]// 0000000036E4: D3F30074 1DD20964
	v_mfma_f32_16x16x32_fp8_fp8 v[116:119], a[102:103], a[6:7], v[116:119]// 0000000036EC: D3F30074 1DD20D66
	ds_read_b128 a[16:19], v2 offset:4224                      // 0000000036F4: DBFE1080 10000002
	ds_read_b128 a[20:23], v2 offset:4288                      // 0000000036FC: DBFE10C0 14000002
	v_mfma_f32_16x16x32_fp8_fp8 v[124:127], a[104:105], a[0:1], v[124:127]// 000000003704: D3F3007C 1DF20168
	v_mfma_f32_16x16x32_fp8_fp8 v[124:127], a[106:107], a[2:3], v[124:127]// 00000000370C: D3F3007C 1DF2056A
	buffer_load_dwordx4 a[36:39], v43, s[84:87], 0 offen offset:1024// 000000003714: E05C1400 8095242B
	v_mfma_f32_16x16x32_fp8_fp8 v[124:127], a[108:109], a[4:5], v[124:127]// 00000000371C: D3F3007C 1DF2096C
	v_mfma_f32_16x16x32_fp8_fp8 v[124:127], a[110:111], a[6:7], v[124:127]// 000000003724: D3F3007C 1DF20D6E
	ds_read_b128 a[24:27], v2 offset:4736                      // 00000000372C: DBFE1280 18000002
	ds_read_b128 a[28:31], v2 offset:4800                      // 000000003734: DBFE12C0 1C000002
	v_mfma_f32_16x16x32_fp8_fp8 v[132:135], a[112:113], a[0:1], v[132:135]// 00000000373C: D3F30084 1E120170
	v_mfma_f32_16x16x32_fp8_fp8 v[132:135], a[114:115], a[2:3], v[132:135]// 000000003744: D3F30084 1E120572
	buffer_load_dwordx4 a[40:43], v44, s[84:87], 0 offen       // 00000000374C: E05C1000 8095282C
	v_mfma_f32_16x16x32_fp8_fp8 v[132:135], a[116:117], a[4:5], v[132:135]// 000000003754: D3F30084 1E120974
	v_mfma_f32_16x16x32_fp8_fp8 v[132:135], a[118:119], a[6:7], v[132:135]// 00000000375C: D3F30084 1E120D76
	v_mfma_f32_16x16x32_fp8_fp8 v[140:143], a[120:121], a[0:1], v[140:143]// 000000003764: D3F3008C 1E320178
	v_mfma_f32_16x16x32_fp8_fp8 v[140:143], a[122:123], a[2:3], v[140:143]// 00000000376C: D3F3008C 1E32057A
	buffer_load_dwordx4 a[44:47], v44, s[84:87], 0 offen offset:1024// 000000003774: E05C1400 80952C2C
	v_mfma_f32_16x16x32_fp8_fp8 v[140:143], a[124:125], a[4:5], v[140:143]// 00000000377C: D3F3008C 1E32097C
	v_mfma_f32_16x16x32_fp8_fp8 v[140:143], a[126:127], a[6:7], v[140:143]// 000000003784: D3F3008C 1E320D7E
	v_mfma_f32_16x16x32_fp8_fp8 v[148:151], a[128:129], a[0:1], v[148:151]// 00000000378C: D3F30094 1E520180
	v_mfma_f32_16x16x32_fp8_fp8 v[148:151], a[130:131], a[2:3], v[148:151]// 000000003794: D3F30094 1E520582
	buffer_load_dwordx4 a[48:51], v45, s[84:87], 0 offen       // 00000000379C: E05C1000 8095302D
	v_mfma_f32_16x16x32_fp8_fp8 v[148:151], a[132:133], a[4:5], v[148:151]// 0000000037A4: D3F30094 1E520984
	v_mfma_f32_16x16x32_fp8_fp8 v[148:151], a[134:135], a[6:7], v[148:151]// 0000000037AC: D3F30094 1E520D86
	v_mfma_f32_16x16x32_fp8_fp8 v[156:159], a[136:137], a[0:1], v[156:159]// 0000000037B4: D3F3009C 1E720188
	v_mfma_f32_16x16x32_fp8_fp8 v[156:159], a[138:139], a[2:3], v[156:159]// 0000000037BC: D3F3009C 1E72058A
	buffer_load_dwordx4 a[52:55], v45, s[84:87], 0 offen offset:1024// 0000000037C4: E05C1400 8095342D
	v_mfma_f32_16x16x32_fp8_fp8 v[156:159], a[140:141], a[4:5], v[156:159]// 0000000037CC: D3F3009C 1E72098C
	v_mfma_f32_16x16x32_fp8_fp8 v[156:159], a[142:143], a[6:7], v[156:159]// 0000000037D4: D3F3009C 1E720D8E
	v_mfma_f32_16x16x32_fp8_fp8 v[164:167], a[144:145], a[0:1], v[164:167]// 0000000037DC: D3F300A4 1E920190
	v_mfma_f32_16x16x32_fp8_fp8 v[164:167], a[146:147], a[2:3], v[164:167]// 0000000037E4: D3F300A4 1E920592
	buffer_load_dwordx4 a[56:59], v46, s[84:87], 0 offen       // 0000000037EC: E05C1000 8095382E
	v_mfma_f32_16x16x32_fp8_fp8 v[164:167], a[148:149], a[4:5], v[164:167]// 0000000037F4: D3F300A4 1E920994
	v_mfma_f32_16x16x32_fp8_fp8 v[164:167], a[150:151], a[6:7], v[164:167]// 0000000037FC: D3F300A4 1E920D96
	v_mfma_f32_16x16x32_fp8_fp8 v[172:175], a[152:153], a[0:1], v[172:175]// 000000003804: D3F300AC 1EB20198
	v_mfma_f32_16x16x32_fp8_fp8 v[172:175], a[154:155], a[2:3], v[172:175]// 00000000380C: D3F300AC 1EB2059A
	buffer_load_dwordx4 a[60:63], v46, s[84:87], 0 offen offset:1024// 000000003814: E05C1400 80953C2E
	v_mfma_f32_16x16x32_fp8_fp8 v[172:175], a[156:157], a[4:5], v[172:175]// 00000000381C: D3F300AC 1EB2099C
	v_mfma_f32_16x16x32_fp8_fp8 v[172:175], a[158:159], a[6:7], v[172:175]// 000000003824: D3F300AC 1EB20D9E
	v_mfma_f32_16x16x32_fp8_fp8 v[120:123], a[96:97], a[8:9], v[120:123]// 00000000382C: D3F30078 1DE21160
	v_mfma_f32_16x16x32_fp8_fp8 v[120:123], a[98:99], a[10:11], v[120:123]// 000000003834: D3F30078 1DE21562
	buffer_load_dwordx4 a[64:67], v47, s[84:87], 0 offen       // 00000000383C: E05C1000 8095402F
	v_mfma_f32_16x16x32_fp8_fp8 v[120:123], a[100:101], a[12:13], v[120:123]// 000000003844: D3F30078 1DE21964
	v_mfma_f32_16x16x32_fp8_fp8 v[120:123], a[102:103], a[14:15], v[120:123]// 00000000384C: D3F30078 1DE21D66
	v_mfma_f32_16x16x32_fp8_fp8 v[128:131], a[104:105], a[8:9], v[128:131]// 000000003854: D3F30080 1E021168
	v_mfma_f32_16x16x32_fp8_fp8 v[128:131], a[106:107], a[10:11], v[128:131]// 00000000385C: D3F30080 1E02156A
	buffer_load_dwordx4 a[68:71], v47, s[84:87], 0 offen offset:1024// 000000003864: E05C1400 8095442F
	v_mfma_f32_16x16x32_fp8_fp8 v[128:131], a[108:109], a[12:13], v[128:131]// 00000000386C: D3F30080 1E02196C
	v_mfma_f32_16x16x32_fp8_fp8 v[128:131], a[110:111], a[14:15], v[128:131]// 000000003874: D3F30080 1E021D6E
	v_mfma_f32_16x16x32_fp8_fp8 v[136:139], a[112:113], a[8:9], v[136:139]// 00000000387C: D3F30088 1E221170
	v_mfma_f32_16x16x32_fp8_fp8 v[136:139], a[114:115], a[10:11], v[136:139]// 000000003884: D3F30088 1E221572
	buffer_load_dwordx4 a[72:75], v48, s[84:87], 0 offen       // 00000000388C: E05C1000 80954830
	v_mfma_f32_16x16x32_fp8_fp8 v[136:139], a[116:117], a[12:13], v[136:139]// 000000003894: D3F30088 1E221974
	v_mfma_f32_16x16x32_fp8_fp8 v[136:139], a[118:119], a[14:15], v[136:139]// 00000000389C: D3F30088 1E221D76
	v_mfma_f32_16x16x32_fp8_fp8 v[144:147], a[120:121], a[8:9], v[144:147]// 0000000038A4: D3F30090 1E421178
	v_mfma_f32_16x16x32_fp8_fp8 v[144:147], a[122:123], a[10:11], v[144:147]// 0000000038AC: D3F30090 1E42157A
	buffer_load_dwordx4 a[76:79], v48, s[84:87], 0 offen offset:1024// 0000000038B4: E05C1400 80954C30
	v_mfma_f32_16x16x32_fp8_fp8 v[144:147], a[124:125], a[12:13], v[144:147]// 0000000038BC: D3F30090 1E42197C
	v_mfma_f32_16x16x32_fp8_fp8 v[144:147], a[126:127], a[14:15], v[144:147]// 0000000038C4: D3F30090 1E421D7E
	v_mfma_f32_16x16x32_fp8_fp8 v[152:155], a[128:129], a[8:9], v[152:155]// 0000000038CC: D3F30098 1E621180
	v_mfma_f32_16x16x32_fp8_fp8 v[152:155], a[130:131], a[10:11], v[152:155]// 0000000038D4: D3F30098 1E621582
	buffer_load_dwordx4 a[80:83], v49, s[84:87], 0 offen       // 0000000038DC: E05C1000 80955031
	v_mfma_f32_16x16x32_fp8_fp8 v[152:155], a[132:133], a[12:13], v[152:155]// 0000000038E4: D3F30098 1E621984
	v_mfma_f32_16x16x32_fp8_fp8 v[152:155], a[134:135], a[14:15], v[152:155]// 0000000038EC: D3F30098 1E621D86
	v_mfma_f32_16x16x32_fp8_fp8 v[160:163], a[136:137], a[8:9], v[160:163]// 0000000038F4: D3F300A0 1E821188
	v_mfma_f32_16x16x32_fp8_fp8 v[160:163], a[138:139], a[10:11], v[160:163]// 0000000038FC: D3F300A0 1E82158A
	buffer_load_dwordx4 a[84:87], v49, s[84:87], 0 offen offset:1024// 000000003904: E05C1400 80955431
	v_mfma_f32_16x16x32_fp8_fp8 v[160:163], a[140:141], a[12:13], v[160:163]// 00000000390C: D3F300A0 1E82198C
	v_mfma_f32_16x16x32_fp8_fp8 v[160:163], a[142:143], a[14:15], v[160:163]// 000000003914: D3F300A0 1E821D8E
	v_mfma_f32_16x16x32_fp8_fp8 v[168:171], a[144:145], a[8:9], v[168:171]// 00000000391C: D3F300A8 1EA21190
	s_add_u32 s60, 0x180, s80                                  // 000000003924: 803C50FF 00000180
	s_cmp_lt_u32 s60, s81                                      // 00000000392C: BF0A513C
	s_cselect_b32 s57, s57, 0                                  // 000000003930: 85398039
	v_mfma_f32_16x16x32_fp8_fp8 v[168:171], a[146:147], a[10:11], v[168:171]// 000000003934: D3F300A8 1EA21592
	buffer_load_dwordx4 a[88:91], v50, s[84:87], 0 offen       // 00000000393C: E05C1000 80955832
	s_add_u32 s60, 0x100, s80                                  // 000000003944: 803C50FF 00000100
	s_cmp_lt_u32 s60, s81                                      // 00000000394C: BF0A513C
	s_cselect_b32 s58, s58, 0                                  // 000000003950: 853A803A
	v_mfma_f32_16x16x32_fp8_fp8 v[168:171], a[148:149], a[12:13], v[168:171]// 000000003954: D3F300A8 1EA21994
	s_add_u32 s60, 0x100, s80                                  // 00000000395C: 803C50FF 00000100
	s_cmp_lt_u32 s60, s81                                      // 000000003964: BF0A513C
	s_cselect_b32 s83, s83, 0                                  // 000000003968: 85538053
	v_mfma_f32_16x16x32_fp8_fp8 v[168:171], a[150:151], a[14:15], v[168:171]// 00000000396C: D3F300A8 1EA21D96
	s_add_u32 s24, s58, s24                                    // 000000003974: 8018183A
	s_addc_u32 s25, 0, s25                                     // 000000003978: 82191980
	v_mfma_f32_16x16x32_fp8_fp8 v[176:179], a[152:153], a[8:9], v[176:179]// 00000000397C: D3F300B0 1EC21198
	s_add_u32 s20, s57, s20                                    // 000000003984: 80141439
	s_addc_u32 s21, 0, s21                                     // 000000003988: 82151580
	v_mfma_f32_16x16x32_fp8_fp8 v[176:179], a[154:155], a[10:11], v[176:179]// 00000000398C: D3F300B0 1EC2159A
	buffer_load_dwordx4 a[92:95], v50, s[84:87], 0 offen offset:1024// 000000003994: E05C1400 80955C32
	s_add_u32 s84, s83, s84                                    // 00000000399C: 80545453
	s_addc_u32 s85, 0, s85                                     // 0000000039A0: 82555580
	v_mfma_f32_16x16x32_fp8_fp8 v[176:179], a[156:157], a[12:13], v[176:179]// 0000000039A4: D3F300B0 1EC2199C
	v_mfma_f32_16x16x32_fp8_fp8 v[176:179], a[158:159], a[14:15], v[176:179]// 0000000039AC: D3F300B0 1EC21D9E
	s_addk_i32 s80, 0x80                                       // 0000000039B4: B7500080
	s_cmp_lt_i32 s80, s81                                      // 0000000039B8: BF045150
	s_cbranch_scc0 label_0B1C                                  // 0000000039BC: BF84072C
	s_waitcnt vmcnt(20) lgkmcnt(0)                             // 0000000039C0: BF8C4074
	v_mfma_f32_16x16x32_fp8_fp8 v[52:55], a[160:161], a[16:17], v[52:55]// 0000000039C4: D3F30034 1CD221A0
	v_mfma_f32_16x16x32_fp8_fp8 v[52:55], a[162:163], a[18:19], v[52:55]// 0000000039CC: D3F30034 1CD225A2
	buffer_load_dwordx4 a[96:99], v43, s[24:27], 0 offen       // 0000000039D4: E05C1000 8086602B
	v_mfma_f32_16x16x32_fp8_fp8 v[52:55], a[164:165], a[20:21], v[52:55]// 0000000039DC: D3F30034 1CD229A4
	v_mfma_f32_16x16x32_fp8_fp8 v[52:55], a[166:167], a[22:23], v[52:55]// 0000000039E4: D3F30034 1CD22DA6
	v_mfma_f32_16x16x32_fp8_fp8 v[60:63], a[168:169], a[16:17], v[60:63]// 0000000039EC: D3F3003C 1CF221A8
	v_mfma_f32_16x16x32_fp8_fp8 v[60:63], a[170:171], a[18:19], v[60:63]// 0000000039F4: D3F3003C 1CF225AA
	buffer_load_dwordx4 a[100:103], v43, s[24:27], 0 offen offset:1024// 0000000039FC: E05C1400 8086642B
	v_mfma_f32_16x16x32_fp8_fp8 v[60:63], a[172:173], a[20:21], v[60:63]// 000000003A04: D3F3003C 1CF229AC
	v_mfma_f32_16x16x32_fp8_fp8 v[60:63], a[174:175], a[22:23], v[60:63]// 000000003A0C: D3F3003C 1CF22DAE
	v_mfma_f32_16x16x32_fp8_fp8 v[68:71], a[176:177], a[16:17], v[68:71]// 000000003A14: D3F30044 1D1221B0
	v_mfma_f32_16x16x32_fp8_fp8 v[68:71], a[178:179], a[18:19], v[68:71]// 000000003A1C: D3F30044 1D1225B2
	buffer_load_dwordx4 a[104:107], v44, s[24:27], 0 offen     // 000000003A24: E05C1000 8086682C
	v_mfma_f32_16x16x32_fp8_fp8 v[68:71], a[180:181], a[20:21], v[68:71]// 000000003A2C: D3F30044 1D1229B4
	v_mfma_f32_16x16x32_fp8_fp8 v[68:71], a[182:183], a[22:23], v[68:71]// 000000003A34: D3F30044 1D122DB6
	v_mfma_f32_16x16x32_fp8_fp8 v[76:79], a[184:185], a[16:17], v[76:79]// 000000003A3C: D3F3004C 1D3221B8
	v_mfma_f32_16x16x32_fp8_fp8 v[76:79], a[186:187], a[18:19], v[76:79]// 000000003A44: D3F3004C 1D3225BA
	buffer_load_dwordx4 a[108:111], v44, s[24:27], 0 offen offset:1024// 000000003A4C: E05C1400 80866C2C
	v_mfma_f32_16x16x32_fp8_fp8 v[76:79], a[188:189], a[20:21], v[76:79]// 000000003A54: D3F3004C 1D3229BC
	v_mfma_f32_16x16x32_fp8_fp8 v[76:79], a[190:191], a[22:23], v[76:79]// 000000003A5C: D3F3004C 1D322DBE
	v_mfma_f32_16x16x32_fp8_fp8 v[84:87], a[192:193], a[16:17], v[84:87]// 000000003A64: D3F30054 1D5221C0
	v_mfma_f32_16x16x32_fp8_fp8 v[84:87], a[194:195], a[18:19], v[84:87]// 000000003A6C: D3F30054 1D5225C2
	buffer_load_dwordx4 a[112:115], v45, s[24:27], 0 offen     // 000000003A74: E05C1000 8086702D
	v_mfma_f32_16x16x32_fp8_fp8 v[84:87], a[196:197], a[20:21], v[84:87]// 000000003A7C: D3F30054 1D5229C4
	v_mfma_f32_16x16x32_fp8_fp8 v[84:87], a[198:199], a[22:23], v[84:87]// 000000003A84: D3F30054 1D522DC6
	v_mfma_f32_16x16x32_fp8_fp8 v[92:95], a[200:201], a[16:17], v[92:95]// 000000003A8C: D3F3005C 1D7221C8
	v_mfma_f32_16x16x32_fp8_fp8 v[92:95], a[202:203], a[18:19], v[92:95]// 000000003A94: D3F3005C 1D7225CA
	buffer_load_dwordx4 a[116:119], v45, s[24:27], 0 offen offset:1024// 000000003A9C: E05C1400 8086742D
	v_mfma_f32_16x16x32_fp8_fp8 v[92:95], a[204:205], a[20:21], v[92:95]// 000000003AA4: D3F3005C 1D7229CC
	v_mfma_f32_16x16x32_fp8_fp8 v[92:95], a[206:207], a[22:23], v[92:95]// 000000003AAC: D3F3005C 1D722DCE
	v_mfma_f32_16x16x32_fp8_fp8 v[100:103], a[208:209], a[16:17], v[100:103]// 000000003AB4: D3F30064 1D9221D0
	v_mfma_f32_16x16x32_fp8_fp8 v[100:103], a[210:211], a[18:19], v[100:103]// 000000003ABC: D3F30064 1D9225D2
	buffer_load_dwordx4 a[120:123], v46, s[24:27], 0 offen     // 000000003AC4: E05C1000 8086782E
	v_mfma_f32_16x16x32_fp8_fp8 v[100:103], a[212:213], a[20:21], v[100:103]// 000000003ACC: D3F30064 1D9229D4
	v_mfma_f32_16x16x32_fp8_fp8 v[100:103], a[214:215], a[22:23], v[100:103]// 000000003AD4: D3F30064 1D922DD6
	v_mfma_f32_16x16x32_fp8_fp8 v[108:111], a[216:217], a[16:17], v[108:111]// 000000003ADC: D3F3006C 1DB221D8
	v_mfma_f32_16x16x32_fp8_fp8 v[108:111], a[218:219], a[18:19], v[108:111]// 000000003AE4: D3F3006C 1DB225DA
	buffer_load_dwordx4 a[124:127], v46, s[24:27], 0 offen offset:1024// 000000003AEC: E05C1400 80867C2E
	v_mfma_f32_16x16x32_fp8_fp8 v[108:111], a[220:221], a[20:21], v[108:111]// 000000003AF4: D3F3006C 1DB229DC
	v_mfma_f32_16x16x32_fp8_fp8 v[108:111], a[222:223], a[22:23], v[108:111]// 000000003AFC: D3F3006C 1DB22DDE
	v_mfma_f32_16x16x32_fp8_fp8 v[56:59], a[160:161], a[24:25], v[56:59]// 000000003B04: D3F30038 1CE231A0
	v_mfma_f32_16x16x32_fp8_fp8 v[56:59], a[162:163], a[26:27], v[56:59]// 000000003B0C: D3F30038 1CE235A2
	buffer_load_dwordx4 a[128:131], v47, s[24:27], 0 offen     // 000000003B14: E05C1000 8086802F
	v_mfma_f32_16x16x32_fp8_fp8 v[56:59], a[164:165], a[28:29], v[56:59]// 000000003B1C: D3F30038 1CE239A4
	v_mfma_f32_16x16x32_fp8_fp8 v[56:59], a[166:167], a[30:31], v[56:59]// 000000003B24: D3F30038 1CE23DA6
	v_mfma_f32_16x16x32_fp8_fp8 v[64:67], a[168:169], a[24:25], v[64:67]// 000000003B2C: D3F30040 1D0231A8
	v_mfma_f32_16x16x32_fp8_fp8 v[64:67], a[170:171], a[26:27], v[64:67]// 000000003B34: D3F30040 1D0235AA
	buffer_load_dwordx4 a[132:135], v47, s[24:27], 0 offen offset:1024// 000000003B3C: E05C1400 8086842F
	v_mfma_f32_16x16x32_fp8_fp8 v[64:67], a[172:173], a[28:29], v[64:67]// 000000003B44: D3F30040 1D0239AC
	v_mfma_f32_16x16x32_fp8_fp8 v[64:67], a[174:175], a[30:31], v[64:67]// 000000003B4C: D3F30040 1D023DAE
	v_mfma_f32_16x16x32_fp8_fp8 v[72:75], a[176:177], a[24:25], v[72:75]// 000000003B54: D3F30048 1D2231B0
	v_mfma_f32_16x16x32_fp8_fp8 v[72:75], a[178:179], a[26:27], v[72:75]// 000000003B5C: D3F30048 1D2235B2
	buffer_load_dwordx4 a[136:139], v48, s[24:27], 0 offen     // 000000003B64: E05C1000 80868830
	v_mfma_f32_16x16x32_fp8_fp8 v[72:75], a[180:181], a[28:29], v[72:75]// 000000003B6C: D3F30048 1D2239B4
	v_mfma_f32_16x16x32_fp8_fp8 v[72:75], a[182:183], a[30:31], v[72:75]// 000000003B74: D3F30048 1D223DB6
	v_mfma_f32_16x16x32_fp8_fp8 v[80:83], a[184:185], a[24:25], v[80:83]// 000000003B7C: D3F30050 1D4231B8
	v_mfma_f32_16x16x32_fp8_fp8 v[80:83], a[186:187], a[26:27], v[80:83]// 000000003B84: D3F30050 1D4235BA
	buffer_load_dwordx4 a[140:143], v48, s[24:27], 0 offen offset:1024// 000000003B8C: E05C1400 80868C30
	v_mfma_f32_16x16x32_fp8_fp8 v[80:83], a[188:189], a[28:29], v[80:83]// 000000003B94: D3F30050 1D4239BC
	v_mfma_f32_16x16x32_fp8_fp8 v[80:83], a[190:191], a[30:31], v[80:83]// 000000003B9C: D3F30050 1D423DBE
	v_mfma_f32_16x16x32_fp8_fp8 v[88:91], a[192:193], a[24:25], v[88:91]// 000000003BA4: D3F30058 1D6231C0
	v_mfma_f32_16x16x32_fp8_fp8 v[88:91], a[194:195], a[26:27], v[88:91]// 000000003BAC: D3F30058 1D6235C2
	buffer_load_dwordx4 a[144:147], v49, s[24:27], 0 offen     // 000000003BB4: E05C1000 80869031
	v_mfma_f32_16x16x32_fp8_fp8 v[88:91], a[196:197], a[28:29], v[88:91]// 000000003BBC: D3F30058 1D6239C4
	v_mfma_f32_16x16x32_fp8_fp8 v[88:91], a[198:199], a[30:31], v[88:91]// 000000003BC4: D3F30058 1D623DC6
	v_mfma_f32_16x16x32_fp8_fp8 v[96:99], a[200:201], a[24:25], v[96:99]// 000000003BCC: D3F30060 1D8231C8
	v_mfma_f32_16x16x32_fp8_fp8 v[96:99], a[202:203], a[26:27], v[96:99]// 000000003BD4: D3F30060 1D8235CA
	buffer_load_dwordx4 a[148:151], v49, s[24:27], 0 offen offset:1024// 000000003BDC: E05C1400 80869431
	v_mfma_f32_16x16x32_fp8_fp8 v[96:99], a[204:205], a[28:29], v[96:99]// 000000003BE4: D3F30060 1D8239CC
	v_mfma_f32_16x16x32_fp8_fp8 v[96:99], a[206:207], a[30:31], v[96:99]// 000000003BEC: D3F30060 1D823DCE
	v_mfma_f32_16x16x32_fp8_fp8 v[104:107], a[208:209], a[24:25], v[104:107]// 000000003BF4: D3F30068 1DA231D0
	v_mfma_f32_16x16x32_fp8_fp8 v[104:107], a[210:211], a[26:27], v[104:107]// 000000003BFC: D3F30068 1DA235D2
	buffer_load_dwordx4 a[152:155], v50, s[24:27], 0 offen     // 000000003C04: E05C1000 80869832
	v_mfma_f32_16x16x32_fp8_fp8 v[104:107], a[212:213], a[28:29], v[104:107]// 000000003C0C: D3F30068 1DA239D4
	v_mfma_f32_16x16x32_fp8_fp8 v[104:107], a[214:215], a[30:31], v[104:107]// 000000003C14: D3F30068 1DA23DD6
	v_mfma_f32_16x16x32_fp8_fp8 v[112:115], a[216:217], a[24:25], v[112:115]// 000000003C1C: D3F30070 1DC231D8
	v_mfma_f32_16x16x32_fp8_fp8 v[112:115], a[218:219], a[26:27], v[112:115]// 000000003C24: D3F30070 1DC235DA
	buffer_load_dwordx4 a[156:159], v50, s[24:27], 0 offen offset:1024// 000000003C2C: E05C1400 80869C32
	buffer_load_dword v39, s[20:23], 0 offen lds               // 000000003C34: E0511000 80050027
	s_add_u32 m0, 0x100, s48                                   // 000000003C3C: 807C30FF 00000100
	v_mfma_f32_16x16x32_fp8_fp8 v[112:115], a[220:221], a[28:29], v[112:115]// 000000003C44: D3F30070 1DC239DC
	v_mfma_f32_16x16x32_fp8_fp8 v[112:115], a[222:223], a[30:31], v[112:115]// 000000003C4C: D3F30070 1DC23DDE
	buffer_load_dword v40, s[20:23], 0 offen lds               // 000000003C54: E0511000 80050028
	s_add_u32 m0, 0x200, s48                                   // 000000003C5C: 807C30FF 00000200
	buffer_load_dword v41, s[20:23], 0 offen lds               // 000000003C64: E0511000 80050029
	s_add_u32 m0, 0x300, s48                                   // 000000003C6C: 807C30FF 00000300
	buffer_load_dword v42, s[20:23], 0 offen lds               // 000000003C74: E0511000 8005002A
	s_add_u32 m0, 0, s49                                       // 000000003C7C: 807C3180
	s_waitcnt vmcnt(20)                                        // 000000003C80: BF8C4F74
	s_barrier                                                  // 000000003C84: BF8A0000
	v_mfma_f32_16x16x32_fp8_fp8 v[116:119], a[32:33], a[16:17], v[116:119]// 000000003C88: D3F30074 1DD22120
	v_mfma_f32_16x16x32_fp8_fp8 v[116:119], a[34:35], a[18:19], v[116:119]// 000000003C90: D3F30074 1DD22522
	buffer_load_dwordx4 a[160:163], v43, s[84:87], 0 offen     // 000000003C98: E05C1000 8095A02B
	v_mfma_f32_16x16x32_fp8_fp8 v[116:119], a[36:37], a[20:21], v[116:119]// 000000003CA0: D3F30074 1DD22924
	v_mfma_f32_16x16x32_fp8_fp8 v[116:119], a[38:39], a[22:23], v[116:119]// 000000003CA8: D3F30074 1DD22D26
	ds_read_b128 a[0:3], v2 offset:8448                        // 000000003CB0: DBFE2100 00000002
	ds_read_b128 a[4:7], v2 offset:8512                        // 000000003CB8: DBFE2140 04000002
	v_mfma_f32_16x16x32_fp8_fp8 v[124:127], a[40:41], a[16:17], v[124:127]// 000000003CC0: D3F3007C 1DF22128
	v_mfma_f32_16x16x32_fp8_fp8 v[124:127], a[42:43], a[18:19], v[124:127]// 000000003CC8: D3F3007C 1DF2252A
	buffer_load_dwordx4 a[164:167], v43, s[84:87], 0 offen offset:1024// 000000003CD0: E05C1400 8095A42B
	v_mfma_f32_16x16x32_fp8_fp8 v[124:127], a[44:45], a[20:21], v[124:127]// 000000003CD8: D3F3007C 1DF2292C
	v_mfma_f32_16x16x32_fp8_fp8 v[124:127], a[46:47], a[22:23], v[124:127]// 000000003CE0: D3F3007C 1DF22D2E
	ds_read_b128 a[8:11], v2 offset:8960                       // 000000003CE8: DBFE2300 08000002
	ds_read_b128 a[12:15], v2 offset:9024                      // 000000003CF0: DBFE2340 0C000002
	v_mfma_f32_16x16x32_fp8_fp8 v[132:135], a[48:49], a[16:17], v[132:135]// 000000003CF8: D3F30084 1E122130
	v_mfma_f32_16x16x32_fp8_fp8 v[132:135], a[50:51], a[18:19], v[132:135]// 000000003D00: D3F30084 1E122532
	buffer_load_dwordx4 a[168:171], v44, s[84:87], 0 offen     // 000000003D08: E05C1000 8095A82C
	v_mfma_f32_16x16x32_fp8_fp8 v[132:135], a[52:53], a[20:21], v[132:135]// 000000003D10: D3F30084 1E122934
	v_mfma_f32_16x16x32_fp8_fp8 v[132:135], a[54:55], a[22:23], v[132:135]// 000000003D18: D3F30084 1E122D36
	v_mfma_f32_16x16x32_fp8_fp8 v[140:143], a[56:57], a[16:17], v[140:143]// 000000003D20: D3F3008C 1E322138
	v_mfma_f32_16x16x32_fp8_fp8 v[140:143], a[58:59], a[18:19], v[140:143]// 000000003D28: D3F3008C 1E32253A
	buffer_load_dwordx4 a[172:175], v44, s[84:87], 0 offen offset:1024// 000000003D30: E05C1400 8095AC2C
	v_mfma_f32_16x16x32_fp8_fp8 v[140:143], a[60:61], a[20:21], v[140:143]// 000000003D38: D3F3008C 1E32293C
	v_mfma_f32_16x16x32_fp8_fp8 v[140:143], a[62:63], a[22:23], v[140:143]// 000000003D40: D3F3008C 1E322D3E
	v_mfma_f32_16x16x32_fp8_fp8 v[148:151], a[64:65], a[16:17], v[148:151]// 000000003D48: D3F30094 1E522140
	v_mfma_f32_16x16x32_fp8_fp8 v[148:151], a[66:67], a[18:19], v[148:151]// 000000003D50: D3F30094 1E522542
	buffer_load_dwordx4 a[176:179], v45, s[84:87], 0 offen     // 000000003D58: E05C1000 8095B02D
	v_mfma_f32_16x16x32_fp8_fp8 v[148:151], a[68:69], a[20:21], v[148:151]// 000000003D60: D3F30094 1E522944
	v_mfma_f32_16x16x32_fp8_fp8 v[148:151], a[70:71], a[22:23], v[148:151]// 000000003D68: D3F30094 1E522D46
	v_mfma_f32_16x16x32_fp8_fp8 v[156:159], a[72:73], a[16:17], v[156:159]// 000000003D70: D3F3009C 1E722148
	v_mfma_f32_16x16x32_fp8_fp8 v[156:159], a[74:75], a[18:19], v[156:159]// 000000003D78: D3F3009C 1E72254A
	buffer_load_dwordx4 a[180:183], v45, s[84:87], 0 offen offset:1024// 000000003D80: E05C1400 8095B42D
	v_mfma_f32_16x16x32_fp8_fp8 v[156:159], a[76:77], a[20:21], v[156:159]// 000000003D88: D3F3009C 1E72294C
	v_mfma_f32_16x16x32_fp8_fp8 v[156:159], a[78:79], a[22:23], v[156:159]// 000000003D90: D3F3009C 1E722D4E
	v_mfma_f32_16x16x32_fp8_fp8 v[164:167], a[80:81], a[16:17], v[164:167]// 000000003D98: D3F300A4 1E922150
	v_mfma_f32_16x16x32_fp8_fp8 v[164:167], a[82:83], a[18:19], v[164:167]// 000000003DA0: D3F300A4 1E922552
	buffer_load_dwordx4 a[184:187], v46, s[84:87], 0 offen     // 000000003DA8: E05C1000 8095B82E
	v_mfma_f32_16x16x32_fp8_fp8 v[164:167], a[84:85], a[20:21], v[164:167]// 000000003DB0: D3F300A4 1E922954
	v_mfma_f32_16x16x32_fp8_fp8 v[164:167], a[86:87], a[22:23], v[164:167]// 000000003DB8: D3F300A4 1E922D56
	v_mfma_f32_16x16x32_fp8_fp8 v[172:175], a[88:89], a[16:17], v[172:175]// 000000003DC0: D3F300AC 1EB22158
	v_mfma_f32_16x16x32_fp8_fp8 v[172:175], a[90:91], a[18:19], v[172:175]// 000000003DC8: D3F300AC 1EB2255A
	buffer_load_dwordx4 a[188:191], v46, s[84:87], 0 offen offset:1024// 000000003DD0: E05C1400 8095BC2E
	v_mfma_f32_16x16x32_fp8_fp8 v[172:175], a[92:93], a[20:21], v[172:175]// 000000003DD8: D3F300AC 1EB2295C
	v_mfma_f32_16x16x32_fp8_fp8 v[172:175], a[94:95], a[22:23], v[172:175]// 000000003DE0: D3F300AC 1EB22D5E
	v_mfma_f32_16x16x32_fp8_fp8 v[120:123], a[32:33], a[24:25], v[120:123]// 000000003DE8: D3F30078 1DE23120
	v_mfma_f32_16x16x32_fp8_fp8 v[120:123], a[34:35], a[26:27], v[120:123]// 000000003DF0: D3F30078 1DE23522
	buffer_load_dwordx4 a[192:195], v47, s[84:87], 0 offen     // 000000003DF8: E05C1000 8095C02F
	v_mfma_f32_16x16x32_fp8_fp8 v[120:123], a[36:37], a[28:29], v[120:123]// 000000003E00: D3F30078 1DE23924
	v_mfma_f32_16x16x32_fp8_fp8 v[120:123], a[38:39], a[30:31], v[120:123]// 000000003E08: D3F30078 1DE23D26
	v_mfma_f32_16x16x32_fp8_fp8 v[128:131], a[40:41], a[24:25], v[128:131]// 000000003E10: D3F30080 1E023128
	v_mfma_f32_16x16x32_fp8_fp8 v[128:131], a[42:43], a[26:27], v[128:131]// 000000003E18: D3F30080 1E02352A
	buffer_load_dwordx4 a[196:199], v47, s[84:87], 0 offen offset:1024// 000000003E20: E05C1400 8095C42F
	v_mfma_f32_16x16x32_fp8_fp8 v[128:131], a[44:45], a[28:29], v[128:131]// 000000003E28: D3F30080 1E02392C
	v_mfma_f32_16x16x32_fp8_fp8 v[128:131], a[46:47], a[30:31], v[128:131]// 000000003E30: D3F30080 1E023D2E
	v_mfma_f32_16x16x32_fp8_fp8 v[136:139], a[48:49], a[24:25], v[136:139]// 000000003E38: D3F30088 1E223130
	v_mfma_f32_16x16x32_fp8_fp8 v[136:139], a[50:51], a[26:27], v[136:139]// 000000003E40: D3F30088 1E223532
	buffer_load_dwordx4 a[200:203], v48, s[84:87], 0 offen     // 000000003E48: E05C1000 8095C830
	v_mfma_f32_16x16x32_fp8_fp8 v[136:139], a[52:53], a[28:29], v[136:139]// 000000003E50: D3F30088 1E223934
	v_mfma_f32_16x16x32_fp8_fp8 v[136:139], a[54:55], a[30:31], v[136:139]// 000000003E58: D3F30088 1E223D36
	v_mfma_f32_16x16x32_fp8_fp8 v[144:147], a[56:57], a[24:25], v[144:147]// 000000003E60: D3F30090 1E423138
	v_mfma_f32_16x16x32_fp8_fp8 v[144:147], a[58:59], a[26:27], v[144:147]// 000000003E68: D3F30090 1E42353A
	buffer_load_dwordx4 a[204:207], v48, s[84:87], 0 offen offset:1024// 000000003E70: E05C1400 8095CC30
	v_mfma_f32_16x16x32_fp8_fp8 v[144:147], a[60:61], a[28:29], v[144:147]// 000000003E78: D3F30090 1E42393C
	v_mfma_f32_16x16x32_fp8_fp8 v[144:147], a[62:63], a[30:31], v[144:147]// 000000003E80: D3F30090 1E423D3E
	v_mfma_f32_16x16x32_fp8_fp8 v[152:155], a[64:65], a[24:25], v[152:155]// 000000003E88: D3F30098 1E623140
	v_mfma_f32_16x16x32_fp8_fp8 v[152:155], a[66:67], a[26:27], v[152:155]// 000000003E90: D3F30098 1E623542
	buffer_load_dwordx4 a[208:211], v49, s[84:87], 0 offen     // 000000003E98: E05C1000 8095D031
	v_mfma_f32_16x16x32_fp8_fp8 v[152:155], a[68:69], a[28:29], v[152:155]// 000000003EA0: D3F30098 1E623944
	v_mfma_f32_16x16x32_fp8_fp8 v[152:155], a[70:71], a[30:31], v[152:155]// 000000003EA8: D3F30098 1E623D46
	v_mfma_f32_16x16x32_fp8_fp8 v[160:163], a[72:73], a[24:25], v[160:163]// 000000003EB0: D3F300A0 1E823148
	v_mfma_f32_16x16x32_fp8_fp8 v[160:163], a[74:75], a[26:27], v[160:163]// 000000003EB8: D3F300A0 1E82354A
	buffer_load_dwordx4 a[212:215], v49, s[84:87], 0 offen offset:1024// 000000003EC0: E05C1400 8095D431
	v_mfma_f32_16x16x32_fp8_fp8 v[160:163], a[76:77], a[28:29], v[160:163]// 000000003EC8: D3F300A0 1E82394C
	v_mfma_f32_16x16x32_fp8_fp8 v[160:163], a[78:79], a[30:31], v[160:163]// 000000003ED0: D3F300A0 1E823D4E
	v_mfma_f32_16x16x32_fp8_fp8 v[168:171], a[80:81], a[24:25], v[168:171]// 000000003ED8: D3F300A8 1EA23150
	s_add_u32 s60, 0x180, s80                                  // 000000003EE0: 803C50FF 00000180
	s_cmp_lt_u32 s60, s81                                      // 000000003EE8: BF0A513C
	s_cselect_b32 s57, s57, 0                                  // 000000003EEC: 85398039
	v_mfma_f32_16x16x32_fp8_fp8 v[168:171], a[82:83], a[26:27], v[168:171]// 000000003EF0: D3F300A8 1EA23552
	buffer_load_dwordx4 a[216:219], v50, s[84:87], 0 offen     // 000000003EF8: E05C1000 8095D832
	s_add_u32 s60, 0x100, s80                                  // 000000003F00: 803C50FF 00000100
	s_cmp_lt_u32 s60, s81                                      // 000000003F08: BF0A513C
	s_cselect_b32 s58, s58, 0                                  // 000000003F0C: 853A803A
	v_mfma_f32_16x16x32_fp8_fp8 v[168:171], a[84:85], a[28:29], v[168:171]// 000000003F10: D3F300A8 1EA23954
	s_add_u32 s60, 0x100, s80                                  // 000000003F18: 803C50FF 00000100
	s_cmp_lt_u32 s60, s81                                      // 000000003F20: BF0A513C
	s_cselect_b32 s83, s83, 0                                  // 000000003F24: 85538053
	v_mfma_f32_16x16x32_fp8_fp8 v[168:171], a[86:87], a[30:31], v[168:171]// 000000003F28: D3F300A8 1EA23D56
	s_add_u32 s24, s58, s24                                    // 000000003F30: 8018183A
	s_addc_u32 s25, 0, s25                                     // 000000003F34: 82191980
	v_mfma_f32_16x16x32_fp8_fp8 v[176:179], a[88:89], a[24:25], v[176:179]// 000000003F38: D3F300B0 1EC23158
	s_add_u32 s20, s57, s20                                    // 000000003F40: 80141439
	s_addc_u32 s21, 0, s21                                     // 000000003F44: 82151580
	v_mfma_f32_16x16x32_fp8_fp8 v[176:179], a[90:91], a[26:27], v[176:179]// 000000003F48: D3F300B0 1EC2355A
	buffer_load_dwordx4 a[220:223], v50, s[84:87], 0 offen offset:1024// 000000003F50: E05C1400 8095DC32
	s_add_u32 s84, s83, s84                                    // 000000003F58: 80545453
	s_addc_u32 s85, 0, s85                                     // 000000003F5C: 82555580
	v_mfma_f32_16x16x32_fp8_fp8 v[176:179], a[92:93], a[28:29], v[176:179]// 000000003F60: D3F300B0 1EC2395C
	v_mfma_f32_16x16x32_fp8_fp8 v[176:179], a[94:95], a[30:31], v[176:179]// 000000003F68: D3F300B0 1EC23D5E
	s_addk_i32 s80, 0x80                                       // 000000003F70: B7500080
	s_cmp_lt_i32 s80, s81                                      // 000000003F74: BF045150
	s_cbranch_scc0 label_0B1C                                  // 000000003F78: BF8405BD
	s_waitcnt vmcnt(20) lgkmcnt(0)                             // 000000003F7C: BF8C4074
	v_mfma_f32_16x16x32_fp8_fp8 v[52:55], a[96:97], a[0:1], v[52:55]// 000000003F80: D3F30034 1CD20160
	v_mfma_f32_16x16x32_fp8_fp8 v[52:55], a[98:99], a[2:3], v[52:55]// 000000003F88: D3F30034 1CD20562
	buffer_load_dwordx4 a[32:35], v43, s[24:27], 0 offen       // 000000003F90: E05C1000 8086202B
	v_mfma_f32_16x16x32_fp8_fp8 v[52:55], a[100:101], a[4:5], v[52:55]// 000000003F98: D3F30034 1CD20964
	v_mfma_f32_16x16x32_fp8_fp8 v[52:55], a[102:103], a[6:7], v[52:55]// 000000003FA0: D3F30034 1CD20D66
	v_mfma_f32_16x16x32_fp8_fp8 v[60:63], a[104:105], a[0:1], v[60:63]// 000000003FA8: D3F3003C 1CF20168
	v_mfma_f32_16x16x32_fp8_fp8 v[60:63], a[106:107], a[2:3], v[60:63]// 000000003FB0: D3F3003C 1CF2056A
	buffer_load_dwordx4 a[36:39], v43, s[24:27], 0 offen offset:1024// 000000003FB8: E05C1400 8086242B
	v_mfma_f32_16x16x32_fp8_fp8 v[60:63], a[108:109], a[4:5], v[60:63]// 000000003FC0: D3F3003C 1CF2096C
	v_mfma_f32_16x16x32_fp8_fp8 v[60:63], a[110:111], a[6:7], v[60:63]// 000000003FC8: D3F3003C 1CF20D6E
	v_mfma_f32_16x16x32_fp8_fp8 v[68:71], a[112:113], a[0:1], v[68:71]// 000000003FD0: D3F30044 1D120170
	v_mfma_f32_16x16x32_fp8_fp8 v[68:71], a[114:115], a[2:3], v[68:71]// 000000003FD8: D3F30044 1D120572
	buffer_load_dwordx4 a[40:43], v44, s[24:27], 0 offen       // 000000003FE0: E05C1000 8086282C
	v_mfma_f32_16x16x32_fp8_fp8 v[68:71], a[116:117], a[4:5], v[68:71]// 000000003FE8: D3F30044 1D120974
	v_mfma_f32_16x16x32_fp8_fp8 v[68:71], a[118:119], a[6:7], v[68:71]// 000000003FF0: D3F30044 1D120D76
	v_mfma_f32_16x16x32_fp8_fp8 v[76:79], a[120:121], a[0:1], v[76:79]// 000000003FF8: D3F3004C 1D320178
	v_mfma_f32_16x16x32_fp8_fp8 v[76:79], a[122:123], a[2:3], v[76:79]// 000000004000: D3F3004C 1D32057A
	buffer_load_dwordx4 a[44:47], v44, s[24:27], 0 offen offset:1024// 000000004008: E05C1400 80862C2C
	v_mfma_f32_16x16x32_fp8_fp8 v[76:79], a[124:125], a[4:5], v[76:79]// 000000004010: D3F3004C 1D32097C
	v_mfma_f32_16x16x32_fp8_fp8 v[76:79], a[126:127], a[6:7], v[76:79]// 000000004018: D3F3004C 1D320D7E
	v_mfma_f32_16x16x32_fp8_fp8 v[84:87], a[128:129], a[0:1], v[84:87]// 000000004020: D3F30054 1D520180
	v_mfma_f32_16x16x32_fp8_fp8 v[84:87], a[130:131], a[2:3], v[84:87]// 000000004028: D3F30054 1D520582
	buffer_load_dwordx4 a[48:51], v45, s[24:27], 0 offen       // 000000004030: E05C1000 8086302D
	v_mfma_f32_16x16x32_fp8_fp8 v[84:87], a[132:133], a[4:5], v[84:87]// 000000004038: D3F30054 1D520984
	v_mfma_f32_16x16x32_fp8_fp8 v[84:87], a[134:135], a[6:7], v[84:87]// 000000004040: D3F30054 1D520D86
	v_mfma_f32_16x16x32_fp8_fp8 v[92:95], a[136:137], a[0:1], v[92:95]// 000000004048: D3F3005C 1D720188
	v_mfma_f32_16x16x32_fp8_fp8 v[92:95], a[138:139], a[2:3], v[92:95]// 000000004050: D3F3005C 1D72058A
	buffer_load_dwordx4 a[52:55], v45, s[24:27], 0 offen offset:1024// 000000004058: E05C1400 8086342D
	v_mfma_f32_16x16x32_fp8_fp8 v[92:95], a[140:141], a[4:5], v[92:95]// 000000004060: D3F3005C 1D72098C
	v_mfma_f32_16x16x32_fp8_fp8 v[92:95], a[142:143], a[6:7], v[92:95]// 000000004068: D3F3005C 1D720D8E
	v_mfma_f32_16x16x32_fp8_fp8 v[100:103], a[144:145], a[0:1], v[100:103]// 000000004070: D3F30064 1D920190
	v_mfma_f32_16x16x32_fp8_fp8 v[100:103], a[146:147], a[2:3], v[100:103]// 000000004078: D3F30064 1D920592
	buffer_load_dwordx4 a[56:59], v46, s[24:27], 0 offen       // 000000004080: E05C1000 8086382E
	v_mfma_f32_16x16x32_fp8_fp8 v[100:103], a[148:149], a[4:5], v[100:103]// 000000004088: D3F30064 1D920994
	v_mfma_f32_16x16x32_fp8_fp8 v[100:103], a[150:151], a[6:7], v[100:103]// 000000004090: D3F30064 1D920D96
	v_mfma_f32_16x16x32_fp8_fp8 v[108:111], a[152:153], a[0:1], v[108:111]// 000000004098: D3F3006C 1DB20198
	v_mfma_f32_16x16x32_fp8_fp8 v[108:111], a[154:155], a[2:3], v[108:111]// 0000000040A0: D3F3006C 1DB2059A
	buffer_load_dwordx4 a[60:63], v46, s[24:27], 0 offen offset:1024// 0000000040A8: E05C1400 80863C2E
	v_mfma_f32_16x16x32_fp8_fp8 v[108:111], a[156:157], a[4:5], v[108:111]// 0000000040B0: D3F3006C 1DB2099C
	v_mfma_f32_16x16x32_fp8_fp8 v[108:111], a[158:159], a[6:7], v[108:111]// 0000000040B8: D3F3006C 1DB20D9E
	v_mfma_f32_16x16x32_fp8_fp8 v[56:59], a[96:97], a[8:9], v[56:59]// 0000000040C0: D3F30038 1CE21160
	v_mfma_f32_16x16x32_fp8_fp8 v[56:59], a[98:99], a[10:11], v[56:59]// 0000000040C8: D3F30038 1CE21562
	buffer_load_dwordx4 a[64:67], v47, s[24:27], 0 offen       // 0000000040D0: E05C1000 8086402F
	v_mfma_f32_16x16x32_fp8_fp8 v[56:59], a[100:101], a[12:13], v[56:59]// 0000000040D8: D3F30038 1CE21964
	v_mfma_f32_16x16x32_fp8_fp8 v[56:59], a[102:103], a[14:15], v[56:59]// 0000000040E0: D3F30038 1CE21D66
	v_mfma_f32_16x16x32_fp8_fp8 v[64:67], a[104:105], a[8:9], v[64:67]// 0000000040E8: D3F30040 1D021168
	v_mfma_f32_16x16x32_fp8_fp8 v[64:67], a[106:107], a[10:11], v[64:67]// 0000000040F0: D3F30040 1D02156A
	buffer_load_dwordx4 a[68:71], v47, s[24:27], 0 offen offset:1024// 0000000040F8: E05C1400 8086442F
	v_mfma_f32_16x16x32_fp8_fp8 v[64:67], a[108:109], a[12:13], v[64:67]// 000000004100: D3F30040 1D02196C
	v_mfma_f32_16x16x32_fp8_fp8 v[64:67], a[110:111], a[14:15], v[64:67]// 000000004108: D3F30040 1D021D6E
	v_mfma_f32_16x16x32_fp8_fp8 v[72:75], a[112:113], a[8:9], v[72:75]// 000000004110: D3F30048 1D221170
	v_mfma_f32_16x16x32_fp8_fp8 v[72:75], a[114:115], a[10:11], v[72:75]// 000000004118: D3F30048 1D221572
	buffer_load_dwordx4 a[72:75], v48, s[24:27], 0 offen       // 000000004120: E05C1000 80864830
	v_mfma_f32_16x16x32_fp8_fp8 v[72:75], a[116:117], a[12:13], v[72:75]// 000000004128: D3F30048 1D221974
	v_mfma_f32_16x16x32_fp8_fp8 v[72:75], a[118:119], a[14:15], v[72:75]// 000000004130: D3F30048 1D221D76
	v_mfma_f32_16x16x32_fp8_fp8 v[80:83], a[120:121], a[8:9], v[80:83]// 000000004138: D3F30050 1D421178
	v_mfma_f32_16x16x32_fp8_fp8 v[80:83], a[122:123], a[10:11], v[80:83]// 000000004140: D3F30050 1D42157A
	buffer_load_dwordx4 a[76:79], v48, s[24:27], 0 offen offset:1024// 000000004148: E05C1400 80864C30
	v_mfma_f32_16x16x32_fp8_fp8 v[80:83], a[124:125], a[12:13], v[80:83]// 000000004150: D3F30050 1D42197C
	v_mfma_f32_16x16x32_fp8_fp8 v[80:83], a[126:127], a[14:15], v[80:83]// 000000004158: D3F30050 1D421D7E
	v_mfma_f32_16x16x32_fp8_fp8 v[88:91], a[128:129], a[8:9], v[88:91]// 000000004160: D3F30058 1D621180
	v_mfma_f32_16x16x32_fp8_fp8 v[88:91], a[130:131], a[10:11], v[88:91]// 000000004168: D3F30058 1D621582
	buffer_load_dwordx4 a[80:83], v49, s[24:27], 0 offen       // 000000004170: E05C1000 80865031
	v_mfma_f32_16x16x32_fp8_fp8 v[88:91], a[132:133], a[12:13], v[88:91]// 000000004178: D3F30058 1D621984
	v_mfma_f32_16x16x32_fp8_fp8 v[88:91], a[134:135], a[14:15], v[88:91]// 000000004180: D3F30058 1D621D86
	v_mfma_f32_16x16x32_fp8_fp8 v[96:99], a[136:137], a[8:9], v[96:99]// 000000004188: D3F30060 1D821188
	v_mfma_f32_16x16x32_fp8_fp8 v[96:99], a[138:139], a[10:11], v[96:99]// 000000004190: D3F30060 1D82158A
	buffer_load_dwordx4 a[84:87], v49, s[24:27], 0 offen offset:1024// 000000004198: E05C1400 80865431
	v_mfma_f32_16x16x32_fp8_fp8 v[96:99], a[140:141], a[12:13], v[96:99]// 0000000041A0: D3F30060 1D82198C
	v_mfma_f32_16x16x32_fp8_fp8 v[96:99], a[142:143], a[14:15], v[96:99]// 0000000041A8: D3F30060 1D821D8E
	v_mfma_f32_16x16x32_fp8_fp8 v[104:107], a[144:145], a[8:9], v[104:107]// 0000000041B0: D3F30068 1DA21190
	v_mfma_f32_16x16x32_fp8_fp8 v[104:107], a[146:147], a[10:11], v[104:107]// 0000000041B8: D3F30068 1DA21592
	buffer_load_dwordx4 a[88:91], v50, s[24:27], 0 offen       // 0000000041C0: E05C1000 80865832
	v_mfma_f32_16x16x32_fp8_fp8 v[104:107], a[148:149], a[12:13], v[104:107]// 0000000041C8: D3F30068 1DA21994
	v_mfma_f32_16x16x32_fp8_fp8 v[104:107], a[150:151], a[14:15], v[104:107]// 0000000041D0: D3F30068 1DA21D96
	v_mfma_f32_16x16x32_fp8_fp8 v[112:115], a[152:153], a[8:9], v[112:115]// 0000000041D8: D3F30070 1DC21198
	v_mfma_f32_16x16x32_fp8_fp8 v[112:115], a[154:155], a[10:11], v[112:115]// 0000000041E0: D3F30070 1DC2159A
	buffer_load_dwordx4 a[92:95], v50, s[24:27], 0 offen offset:1024// 0000000041E8: E05C1400 80865C32
	buffer_load_dword v39, s[20:23], 0 offen lds               // 0000000041F0: E0511000 80050027
	s_add_u32 m0, 0x100, s49                                   // 0000000041F8: 807C31FF 00000100
	v_mfma_f32_16x16x32_fp8_fp8 v[112:115], a[156:157], a[12:13], v[112:115]// 000000004200: D3F30070 1DC2199C
	v_mfma_f32_16x16x32_fp8_fp8 v[112:115], a[158:159], a[14:15], v[112:115]// 000000004208: D3F30070 1DC21D9E
	buffer_load_dword v40, s[20:23], 0 offen lds               // 000000004210: E0511000 80050028
	s_add_u32 m0, 0x200, s49                                   // 000000004218: 807C31FF 00000200
	buffer_load_dword v41, s[20:23], 0 offen lds               // 000000004220: E0511000 80050029
	s_add_u32 m0, 0x300, s49                                   // 000000004228: 807C31FF 00000300
	buffer_load_dword v42, s[20:23], 0 offen lds               // 000000004230: E0511000 8005002A
	s_add_u32 m0, 0, s50                                       // 000000004238: 807C3280
	s_waitcnt vmcnt(20)                                        // 00000000423C: BF8C4F74
	s_barrier                                                  // 000000004240: BF8A0000
	v_mfma_f32_16x16x32_fp8_fp8 v[116:119], a[160:161], a[0:1], v[116:119]// 000000004244: D3F30074 1DD201A0
	v_mfma_f32_16x16x32_fp8_fp8 v[116:119], a[162:163], a[2:3], v[116:119]// 00000000424C: D3F30074 1DD205A2
	buffer_load_dwordx4 a[96:99], v43, s[84:87], 0 offen       // 000000004254: E05C1000 8095602B
	v_mfma_f32_16x16x32_fp8_fp8 v[116:119], a[164:165], a[4:5], v[116:119]// 00000000425C: D3F30074 1DD209A4
	v_mfma_f32_16x16x32_fp8_fp8 v[116:119], a[166:167], a[6:7], v[116:119]// 000000004264: D3F30074 1DD20DA6
	ds_read_b128 a[16:19], v2                                  // 00000000426C: DBFE0000 10000002
	ds_read_b128 a[20:23], v2 offset:64                        // 000000004274: DBFE0040 14000002
	v_mfma_f32_16x16x32_fp8_fp8 v[124:127], a[168:169], a[0:1], v[124:127]// 00000000427C: D3F3007C 1DF201A8
	v_mfma_f32_16x16x32_fp8_fp8 v[124:127], a[170:171], a[2:3], v[124:127]// 000000004284: D3F3007C 1DF205AA
	buffer_load_dwordx4 a[100:103], v43, s[84:87], 0 offen offset:1024// 00000000428C: E05C1400 8095642B
	v_mfma_f32_16x16x32_fp8_fp8 v[124:127], a[172:173], a[4:5], v[124:127]// 000000004294: D3F3007C 1DF209AC
	v_mfma_f32_16x16x32_fp8_fp8 v[124:127], a[174:175], a[6:7], v[124:127]// 00000000429C: D3F3007C 1DF20DAE
	ds_read_b128 a[24:27], v2 offset:512                       // 0000000042A4: DBFE0200 18000002
	ds_read_b128 a[28:31], v2 offset:576                       // 0000000042AC: DBFE0240 1C000002
	v_mfma_f32_16x16x32_fp8_fp8 v[132:135], a[176:177], a[0:1], v[132:135]// 0000000042B4: D3F30084 1E1201B0
	v_mfma_f32_16x16x32_fp8_fp8 v[132:135], a[178:179], a[2:3], v[132:135]// 0000000042BC: D3F30084 1E1205B2
	buffer_load_dwordx4 a[104:107], v44, s[84:87], 0 offen     // 0000000042C4: E05C1000 8095682C
	v_mfma_f32_16x16x32_fp8_fp8 v[132:135], a[180:181], a[4:5], v[132:135]// 0000000042CC: D3F30084 1E1209B4
	v_mfma_f32_16x16x32_fp8_fp8 v[132:135], a[182:183], a[6:7], v[132:135]// 0000000042D4: D3F30084 1E120DB6
	v_mfma_f32_16x16x32_fp8_fp8 v[140:143], a[184:185], a[0:1], v[140:143]// 0000000042DC: D3F3008C 1E3201B8
	v_mfma_f32_16x16x32_fp8_fp8 v[140:143], a[186:187], a[2:3], v[140:143]// 0000000042E4: D3F3008C 1E3205BA
	buffer_load_dwordx4 a[108:111], v44, s[84:87], 0 offen offset:1024// 0000000042EC: E05C1400 80956C2C
	v_mfma_f32_16x16x32_fp8_fp8 v[140:143], a[188:189], a[4:5], v[140:143]// 0000000042F4: D3F3008C 1E3209BC
	v_mfma_f32_16x16x32_fp8_fp8 v[140:143], a[190:191], a[6:7], v[140:143]// 0000000042FC: D3F3008C 1E320DBE
	v_mfma_f32_16x16x32_fp8_fp8 v[148:151], a[192:193], a[0:1], v[148:151]// 000000004304: D3F30094 1E5201C0
	v_mfma_f32_16x16x32_fp8_fp8 v[148:151], a[194:195], a[2:3], v[148:151]// 00000000430C: D3F30094 1E5205C2
	buffer_load_dwordx4 a[112:115], v45, s[84:87], 0 offen     // 000000004314: E05C1000 8095702D
	v_mfma_f32_16x16x32_fp8_fp8 v[148:151], a[196:197], a[4:5], v[148:151]// 00000000431C: D3F30094 1E5209C4
	v_mfma_f32_16x16x32_fp8_fp8 v[148:151], a[198:199], a[6:7], v[148:151]// 000000004324: D3F30094 1E520DC6
	v_mfma_f32_16x16x32_fp8_fp8 v[156:159], a[200:201], a[0:1], v[156:159]// 00000000432C: D3F3009C 1E7201C8
	v_mfma_f32_16x16x32_fp8_fp8 v[156:159], a[202:203], a[2:3], v[156:159]// 000000004334: D3F3009C 1E7205CA
	buffer_load_dwordx4 a[116:119], v45, s[84:87], 0 offen offset:1024// 00000000433C: E05C1400 8095742D
	v_mfma_f32_16x16x32_fp8_fp8 v[156:159], a[204:205], a[4:5], v[156:159]// 000000004344: D3F3009C 1E7209CC
	v_mfma_f32_16x16x32_fp8_fp8 v[156:159], a[206:207], a[6:7], v[156:159]// 00000000434C: D3F3009C 1E720DCE
	v_mfma_f32_16x16x32_fp8_fp8 v[164:167], a[208:209], a[0:1], v[164:167]// 000000004354: D3F300A4 1E9201D0
	v_mfma_f32_16x16x32_fp8_fp8 v[164:167], a[210:211], a[2:3], v[164:167]// 00000000435C: D3F300A4 1E9205D2
	buffer_load_dwordx4 a[120:123], v46, s[84:87], 0 offen     // 000000004364: E05C1000 8095782E
	v_mfma_f32_16x16x32_fp8_fp8 v[164:167], a[212:213], a[4:5], v[164:167]// 00000000436C: D3F300A4 1E9209D4
	v_mfma_f32_16x16x32_fp8_fp8 v[164:167], a[214:215], a[6:7], v[164:167]// 000000004374: D3F300A4 1E920DD6
	v_mfma_f32_16x16x32_fp8_fp8 v[172:175], a[216:217], a[0:1], v[172:175]// 00000000437C: D3F300AC 1EB201D8
	v_mfma_f32_16x16x32_fp8_fp8 v[172:175], a[218:219], a[2:3], v[172:175]// 000000004384: D3F300AC 1EB205DA
	buffer_load_dwordx4 a[124:127], v46, s[84:87], 0 offen offset:1024// 00000000438C: E05C1400 80957C2E
	v_mfma_f32_16x16x32_fp8_fp8 v[172:175], a[220:221], a[4:5], v[172:175]// 000000004394: D3F300AC 1EB209DC
	v_mfma_f32_16x16x32_fp8_fp8 v[172:175], a[222:223], a[6:7], v[172:175]// 00000000439C: D3F300AC 1EB20DDE
	v_mfma_f32_16x16x32_fp8_fp8 v[120:123], a[160:161], a[8:9], v[120:123]// 0000000043A4: D3F30078 1DE211A0
	v_mfma_f32_16x16x32_fp8_fp8 v[120:123], a[162:163], a[10:11], v[120:123]// 0000000043AC: D3F30078 1DE215A2
	buffer_load_dwordx4 a[128:131], v47, s[84:87], 0 offen     // 0000000043B4: E05C1000 8095802F
	v_mfma_f32_16x16x32_fp8_fp8 v[120:123], a[164:165], a[12:13], v[120:123]// 0000000043BC: D3F30078 1DE219A4
	v_mfma_f32_16x16x32_fp8_fp8 v[120:123], a[166:167], a[14:15], v[120:123]// 0000000043C4: D3F30078 1DE21DA6
	v_mfma_f32_16x16x32_fp8_fp8 v[128:131], a[168:169], a[8:9], v[128:131]// 0000000043CC: D3F30080 1E0211A8
	v_mfma_f32_16x16x32_fp8_fp8 v[128:131], a[170:171], a[10:11], v[128:131]// 0000000043D4: D3F30080 1E0215AA
	buffer_load_dwordx4 a[132:135], v47, s[84:87], 0 offen offset:1024// 0000000043DC: E05C1400 8095842F
	v_mfma_f32_16x16x32_fp8_fp8 v[128:131], a[172:173], a[12:13], v[128:131]// 0000000043E4: D3F30080 1E0219AC
	v_mfma_f32_16x16x32_fp8_fp8 v[128:131], a[174:175], a[14:15], v[128:131]// 0000000043EC: D3F30080 1E021DAE
	v_mfma_f32_16x16x32_fp8_fp8 v[136:139], a[176:177], a[8:9], v[136:139]// 0000000043F4: D3F30088 1E2211B0
	v_mfma_f32_16x16x32_fp8_fp8 v[136:139], a[178:179], a[10:11], v[136:139]// 0000000043FC: D3F30088 1E2215B2
	buffer_load_dwordx4 a[136:139], v48, s[84:87], 0 offen     // 000000004404: E05C1000 80958830
	v_mfma_f32_16x16x32_fp8_fp8 v[136:139], a[180:181], a[12:13], v[136:139]// 00000000440C: D3F30088 1E2219B4
	v_mfma_f32_16x16x32_fp8_fp8 v[136:139], a[182:183], a[14:15], v[136:139]// 000000004414: D3F30088 1E221DB6
	v_mfma_f32_16x16x32_fp8_fp8 v[144:147], a[184:185], a[8:9], v[144:147]// 00000000441C: D3F30090 1E4211B8
	v_mfma_f32_16x16x32_fp8_fp8 v[144:147], a[186:187], a[10:11], v[144:147]// 000000004424: D3F30090 1E4215BA
	buffer_load_dwordx4 a[140:143], v48, s[84:87], 0 offen offset:1024// 00000000442C: E05C1400 80958C30
	v_mfma_f32_16x16x32_fp8_fp8 v[144:147], a[188:189], a[12:13], v[144:147]// 000000004434: D3F30090 1E4219BC
	v_mfma_f32_16x16x32_fp8_fp8 v[144:147], a[190:191], a[14:15], v[144:147]// 00000000443C: D3F30090 1E421DBE
	v_mfma_f32_16x16x32_fp8_fp8 v[152:155], a[192:193], a[8:9], v[152:155]// 000000004444: D3F30098 1E6211C0
	v_mfma_f32_16x16x32_fp8_fp8 v[152:155], a[194:195], a[10:11], v[152:155]// 00000000444C: D3F30098 1E6215C2
	buffer_load_dwordx4 a[144:147], v49, s[84:87], 0 offen     // 000000004454: E05C1000 80959031
	v_mfma_f32_16x16x32_fp8_fp8 v[152:155], a[196:197], a[12:13], v[152:155]// 00000000445C: D3F30098 1E6219C4
	v_mfma_f32_16x16x32_fp8_fp8 v[152:155], a[198:199], a[14:15], v[152:155]// 000000004464: D3F30098 1E621DC6
	v_mfma_f32_16x16x32_fp8_fp8 v[160:163], a[200:201], a[8:9], v[160:163]// 00000000446C: D3F300A0 1E8211C8
	v_mfma_f32_16x16x32_fp8_fp8 v[160:163], a[202:203], a[10:11], v[160:163]// 000000004474: D3F300A0 1E8215CA
	buffer_load_dwordx4 a[148:151], v49, s[84:87], 0 offen offset:1024// 00000000447C: E05C1400 80959431
	v_mfma_f32_16x16x32_fp8_fp8 v[160:163], a[204:205], a[12:13], v[160:163]// 000000004484: D3F300A0 1E8219CC
	v_mfma_f32_16x16x32_fp8_fp8 v[160:163], a[206:207], a[14:15], v[160:163]// 00000000448C: D3F300A0 1E821DCE
	v_mfma_f32_16x16x32_fp8_fp8 v[168:171], a[208:209], a[8:9], v[168:171]// 000000004494: D3F300A8 1EA211D0
	s_add_u32 s60, 0x180, s80                                  // 00000000449C: 803C50FF 00000180
	s_cmp_lt_u32 s60, s81                                      // 0000000044A4: BF0A513C
	s_cselect_b32 s57, s57, 0                                  // 0000000044A8: 85398039
	v_mfma_f32_16x16x32_fp8_fp8 v[168:171], a[210:211], a[10:11], v[168:171]// 0000000044AC: D3F300A8 1EA215D2
	buffer_load_dwordx4 a[152:155], v50, s[84:87], 0 offen     // 0000000044B4: E05C1000 80959832
	s_add_u32 s60, 0x100, s80                                  // 0000000044BC: 803C50FF 00000100
	s_cmp_lt_u32 s60, s81                                      // 0000000044C4: BF0A513C
	s_cselect_b32 s58, s58, 0                                  // 0000000044C8: 853A803A
	v_mfma_f32_16x16x32_fp8_fp8 v[168:171], a[212:213], a[12:13], v[168:171]// 0000000044CC: D3F300A8 1EA219D4
	s_add_u32 s60, 0x100, s80                                  // 0000000044D4: 803C50FF 00000100
	s_cmp_lt_u32 s60, s81                                      // 0000000044DC: BF0A513C
	s_cselect_b32 s83, s83, 0                                  // 0000000044E0: 85538053
	v_mfma_f32_16x16x32_fp8_fp8 v[168:171], a[214:215], a[14:15], v[168:171]// 0000000044E4: D3F300A8 1EA21DD6
	s_add_u32 s24, s58, s24                                    // 0000000044EC: 8018183A
	s_addc_u32 s25, 0, s25                                     // 0000000044F0: 82191980
	v_mfma_f32_16x16x32_fp8_fp8 v[176:179], a[216:217], a[8:9], v[176:179]// 0000000044F4: D3F300B0 1EC211D8
	s_add_u32 s20, s57, s20                                    // 0000000044FC: 80141439
	s_addc_u32 s21, 0, s21                                     // 000000004500: 82151580
	v_mfma_f32_16x16x32_fp8_fp8 v[176:179], a[218:219], a[10:11], v[176:179]// 000000004504: D3F300B0 1EC215DA
	buffer_load_dwordx4 a[156:159], v50, s[84:87], 0 offen offset:1024// 00000000450C: E05C1400 80959C32
	s_add_u32 s84, s83, s84                                    // 000000004514: 80545453
	s_addc_u32 s85, 0, s85                                     // 000000004518: 82555580
	v_mfma_f32_16x16x32_fp8_fp8 v[176:179], a[220:221], a[12:13], v[176:179]// 00000000451C: D3F300B0 1EC219DC
	v_mfma_f32_16x16x32_fp8_fp8 v[176:179], a[222:223], a[14:15], v[176:179]// 000000004524: D3F300B0 1EC21DDE
	s_addk_i32 s80, 0x80                                       // 00000000452C: B7500080
	s_cmp_lt_i32 s80, s81                                      // 000000004530: BF045150
	s_cbranch_scc0 label_0B1C                                  // 000000004534: BF84044E
	s_waitcnt vmcnt(20) lgkmcnt(0)                             // 000000004538: BF8C4074
	v_mfma_f32_16x16x32_fp8_fp8 v[52:55], a[32:33], a[16:17], v[52:55]// 00000000453C: D3F30034 1CD22120
	v_mfma_f32_16x16x32_fp8_fp8 v[52:55], a[34:35], a[18:19], v[52:55]// 000000004544: D3F30034 1CD22522
	buffer_load_dwordx4 a[160:163], v43, s[24:27], 0 offen     // 00000000454C: E05C1000 8086A02B
	v_mfma_f32_16x16x32_fp8_fp8 v[52:55], a[36:37], a[20:21], v[52:55]// 000000004554: D3F30034 1CD22924
	v_mfma_f32_16x16x32_fp8_fp8 v[52:55], a[38:39], a[22:23], v[52:55]// 00000000455C: D3F30034 1CD22D26
	v_mfma_f32_16x16x32_fp8_fp8 v[60:63], a[40:41], a[16:17], v[60:63]// 000000004564: D3F3003C 1CF22128
	v_mfma_f32_16x16x32_fp8_fp8 v[60:63], a[42:43], a[18:19], v[60:63]// 00000000456C: D3F3003C 1CF2252A
	buffer_load_dwordx4 a[164:167], v43, s[24:27], 0 offen offset:1024// 000000004574: E05C1400 8086A42B
	v_mfma_f32_16x16x32_fp8_fp8 v[60:63], a[44:45], a[20:21], v[60:63]// 00000000457C: D3F3003C 1CF2292C
	v_mfma_f32_16x16x32_fp8_fp8 v[60:63], a[46:47], a[22:23], v[60:63]// 000000004584: D3F3003C 1CF22D2E
	v_mfma_f32_16x16x32_fp8_fp8 v[68:71], a[48:49], a[16:17], v[68:71]// 00000000458C: D3F30044 1D122130
	v_mfma_f32_16x16x32_fp8_fp8 v[68:71], a[50:51], a[18:19], v[68:71]// 000000004594: D3F30044 1D122532
	buffer_load_dwordx4 a[168:171], v44, s[24:27], 0 offen     // 00000000459C: E05C1000 8086A82C
	v_mfma_f32_16x16x32_fp8_fp8 v[68:71], a[52:53], a[20:21], v[68:71]// 0000000045A4: D3F30044 1D122934
	v_mfma_f32_16x16x32_fp8_fp8 v[68:71], a[54:55], a[22:23], v[68:71]// 0000000045AC: D3F30044 1D122D36
	v_mfma_f32_16x16x32_fp8_fp8 v[76:79], a[56:57], a[16:17], v[76:79]// 0000000045B4: D3F3004C 1D322138
	v_mfma_f32_16x16x32_fp8_fp8 v[76:79], a[58:59], a[18:19], v[76:79]// 0000000045BC: D3F3004C 1D32253A
	buffer_load_dwordx4 a[172:175], v44, s[24:27], 0 offen offset:1024// 0000000045C4: E05C1400 8086AC2C
	v_mfma_f32_16x16x32_fp8_fp8 v[76:79], a[60:61], a[20:21], v[76:79]// 0000000045CC: D3F3004C 1D32293C
	v_mfma_f32_16x16x32_fp8_fp8 v[76:79], a[62:63], a[22:23], v[76:79]// 0000000045D4: D3F3004C 1D322D3E
	v_mfma_f32_16x16x32_fp8_fp8 v[84:87], a[64:65], a[16:17], v[84:87]// 0000000045DC: D3F30054 1D522140
	v_mfma_f32_16x16x32_fp8_fp8 v[84:87], a[66:67], a[18:19], v[84:87]// 0000000045E4: D3F30054 1D522542
	buffer_load_dwordx4 a[176:179], v45, s[24:27], 0 offen     // 0000000045EC: E05C1000 8086B02D
	v_mfma_f32_16x16x32_fp8_fp8 v[84:87], a[68:69], a[20:21], v[84:87]// 0000000045F4: D3F30054 1D522944
	v_mfma_f32_16x16x32_fp8_fp8 v[84:87], a[70:71], a[22:23], v[84:87]// 0000000045FC: D3F30054 1D522D46
	v_mfma_f32_16x16x32_fp8_fp8 v[92:95], a[72:73], a[16:17], v[92:95]// 000000004604: D3F3005C 1D722148
	v_mfma_f32_16x16x32_fp8_fp8 v[92:95], a[74:75], a[18:19], v[92:95]// 00000000460C: D3F3005C 1D72254A
	buffer_load_dwordx4 a[180:183], v45, s[24:27], 0 offen offset:1024// 000000004614: E05C1400 8086B42D
	v_mfma_f32_16x16x32_fp8_fp8 v[92:95], a[76:77], a[20:21], v[92:95]// 00000000461C: D3F3005C 1D72294C
	v_mfma_f32_16x16x32_fp8_fp8 v[92:95], a[78:79], a[22:23], v[92:95]// 000000004624: D3F3005C 1D722D4E
	v_mfma_f32_16x16x32_fp8_fp8 v[100:103], a[80:81], a[16:17], v[100:103]// 00000000462C: D3F30064 1D922150
	v_mfma_f32_16x16x32_fp8_fp8 v[100:103], a[82:83], a[18:19], v[100:103]// 000000004634: D3F30064 1D922552
	buffer_load_dwordx4 a[184:187], v46, s[24:27], 0 offen     // 00000000463C: E05C1000 8086B82E
	v_mfma_f32_16x16x32_fp8_fp8 v[100:103], a[84:85], a[20:21], v[100:103]// 000000004644: D3F30064 1D922954
	v_mfma_f32_16x16x32_fp8_fp8 v[100:103], a[86:87], a[22:23], v[100:103]// 00000000464C: D3F30064 1D922D56
	v_mfma_f32_16x16x32_fp8_fp8 v[108:111], a[88:89], a[16:17], v[108:111]// 000000004654: D3F3006C 1DB22158
	v_mfma_f32_16x16x32_fp8_fp8 v[108:111], a[90:91], a[18:19], v[108:111]// 00000000465C: D3F3006C 1DB2255A
	buffer_load_dwordx4 a[188:191], v46, s[24:27], 0 offen offset:1024// 000000004664: E05C1400 8086BC2E
	v_mfma_f32_16x16x32_fp8_fp8 v[108:111], a[92:93], a[20:21], v[108:111]// 00000000466C: D3F3006C 1DB2295C
	v_mfma_f32_16x16x32_fp8_fp8 v[108:111], a[94:95], a[22:23], v[108:111]// 000000004674: D3F3006C 1DB22D5E
	v_mfma_f32_16x16x32_fp8_fp8 v[56:59], a[32:33], a[24:25], v[56:59]// 00000000467C: D3F30038 1CE23120
	v_mfma_f32_16x16x32_fp8_fp8 v[56:59], a[34:35], a[26:27], v[56:59]// 000000004684: D3F30038 1CE23522
	buffer_load_dwordx4 a[192:195], v47, s[24:27], 0 offen     // 00000000468C: E05C1000 8086C02F
	v_mfma_f32_16x16x32_fp8_fp8 v[56:59], a[36:37], a[28:29], v[56:59]// 000000004694: D3F30038 1CE23924
	v_mfma_f32_16x16x32_fp8_fp8 v[56:59], a[38:39], a[30:31], v[56:59]// 00000000469C: D3F30038 1CE23D26
	v_mfma_f32_16x16x32_fp8_fp8 v[64:67], a[40:41], a[24:25], v[64:67]// 0000000046A4: D3F30040 1D023128
	v_mfma_f32_16x16x32_fp8_fp8 v[64:67], a[42:43], a[26:27], v[64:67]// 0000000046AC: D3F30040 1D02352A
	buffer_load_dwordx4 a[196:199], v47, s[24:27], 0 offen offset:1024// 0000000046B4: E05C1400 8086C42F
	v_mfma_f32_16x16x32_fp8_fp8 v[64:67], a[44:45], a[28:29], v[64:67]// 0000000046BC: D3F30040 1D02392C
	v_mfma_f32_16x16x32_fp8_fp8 v[64:67], a[46:47], a[30:31], v[64:67]// 0000000046C4: D3F30040 1D023D2E
	v_mfma_f32_16x16x32_fp8_fp8 v[72:75], a[48:49], a[24:25], v[72:75]// 0000000046CC: D3F30048 1D223130
	v_mfma_f32_16x16x32_fp8_fp8 v[72:75], a[50:51], a[26:27], v[72:75]// 0000000046D4: D3F30048 1D223532
	buffer_load_dwordx4 a[200:203], v48, s[24:27], 0 offen     // 0000000046DC: E05C1000 8086C830
	v_mfma_f32_16x16x32_fp8_fp8 v[72:75], a[52:53], a[28:29], v[72:75]// 0000000046E4: D3F30048 1D223934
	v_mfma_f32_16x16x32_fp8_fp8 v[72:75], a[54:55], a[30:31], v[72:75]// 0000000046EC: D3F30048 1D223D36
	v_mfma_f32_16x16x32_fp8_fp8 v[80:83], a[56:57], a[24:25], v[80:83]// 0000000046F4: D3F30050 1D423138
	v_mfma_f32_16x16x32_fp8_fp8 v[80:83], a[58:59], a[26:27], v[80:83]// 0000000046FC: D3F30050 1D42353A
	buffer_load_dwordx4 a[204:207], v48, s[24:27], 0 offen offset:1024// 000000004704: E05C1400 8086CC30
	v_mfma_f32_16x16x32_fp8_fp8 v[80:83], a[60:61], a[28:29], v[80:83]// 00000000470C: D3F30050 1D42393C
	v_mfma_f32_16x16x32_fp8_fp8 v[80:83], a[62:63], a[30:31], v[80:83]// 000000004714: D3F30050 1D423D3E
	v_mfma_f32_16x16x32_fp8_fp8 v[88:91], a[64:65], a[24:25], v[88:91]// 00000000471C: D3F30058 1D623140
	v_mfma_f32_16x16x32_fp8_fp8 v[88:91], a[66:67], a[26:27], v[88:91]// 000000004724: D3F30058 1D623542
	buffer_load_dwordx4 a[208:211], v49, s[24:27], 0 offen     // 00000000472C: E05C1000 8086D031
	v_mfma_f32_16x16x32_fp8_fp8 v[88:91], a[68:69], a[28:29], v[88:91]// 000000004734: D3F30058 1D623944
	v_mfma_f32_16x16x32_fp8_fp8 v[88:91], a[70:71], a[30:31], v[88:91]// 00000000473C: D3F30058 1D623D46
	v_mfma_f32_16x16x32_fp8_fp8 v[96:99], a[72:73], a[24:25], v[96:99]// 000000004744: D3F30060 1D823148
	v_mfma_f32_16x16x32_fp8_fp8 v[96:99], a[74:75], a[26:27], v[96:99]// 00000000474C: D3F30060 1D82354A
	buffer_load_dwordx4 a[212:215], v49, s[24:27], 0 offen offset:1024// 000000004754: E05C1400 8086D431
	v_mfma_f32_16x16x32_fp8_fp8 v[96:99], a[76:77], a[28:29], v[96:99]// 00000000475C: D3F30060 1D82394C
	v_mfma_f32_16x16x32_fp8_fp8 v[96:99], a[78:79], a[30:31], v[96:99]// 000000004764: D3F30060 1D823D4E
	v_mfma_f32_16x16x32_fp8_fp8 v[104:107], a[80:81], a[24:25], v[104:107]// 00000000476C: D3F30068 1DA23150
	v_mfma_f32_16x16x32_fp8_fp8 v[104:107], a[82:83], a[26:27], v[104:107]// 000000004774: D3F30068 1DA23552
	buffer_load_dwordx4 a[216:219], v50, s[24:27], 0 offen     // 00000000477C: E05C1000 8086D832
	v_mfma_f32_16x16x32_fp8_fp8 v[104:107], a[84:85], a[28:29], v[104:107]// 000000004784: D3F30068 1DA23954
	v_mfma_f32_16x16x32_fp8_fp8 v[104:107], a[86:87], a[30:31], v[104:107]// 00000000478C: D3F30068 1DA23D56
	v_mfma_f32_16x16x32_fp8_fp8 v[112:115], a[88:89], a[24:25], v[112:115]// 000000004794: D3F30070 1DC23158
	v_mfma_f32_16x16x32_fp8_fp8 v[112:115], a[90:91], a[26:27], v[112:115]// 00000000479C: D3F30070 1DC2355A
	buffer_load_dwordx4 a[220:223], v50, s[24:27], 0 offen offset:1024// 0000000047A4: E05C1400 8086DC32
	buffer_load_dword v39, s[20:23], 0 offen lds               // 0000000047AC: E0511000 80050027
	s_add_u32 m0, 0x100, s50                                   // 0000000047B4: 807C32FF 00000100
	v_mfma_f32_16x16x32_fp8_fp8 v[112:115], a[92:93], a[28:29], v[112:115]// 0000000047BC: D3F30070 1DC2395C
	v_mfma_f32_16x16x32_fp8_fp8 v[112:115], a[94:95], a[30:31], v[112:115]// 0000000047C4: D3F30070 1DC23D5E
	buffer_load_dword v40, s[20:23], 0 offen lds               // 0000000047CC: E0511000 80050028
	s_add_u32 m0, 0x200, s50                                   // 0000000047D4: 807C32FF 00000200
	buffer_load_dword v41, s[20:23], 0 offen lds               // 0000000047DC: E0511000 80050029
	s_add_u32 m0, 0x300, s50                                   // 0000000047E4: 807C32FF 00000300
	buffer_load_dword v42, s[20:23], 0 offen lds               // 0000000047EC: E0511000 8005002A
	s_add_u32 m0, 0, s48                                       // 0000000047F4: 807C3080
	s_waitcnt vmcnt(20)                                        // 0000000047F8: BF8C4F74
	s_barrier                                                  // 0000000047FC: BF8A0000
	v_mfma_f32_16x16x32_fp8_fp8 v[116:119], a[96:97], a[16:17], v[116:119]// 000000004800: D3F30074 1DD22160
	v_mfma_f32_16x16x32_fp8_fp8 v[116:119], a[98:99], a[18:19], v[116:119]// 000000004808: D3F30074 1DD22562
	buffer_load_dwordx4 a[32:35], v43, s[84:87], 0 offen       // 000000004810: E05C1000 8095202B
	v_mfma_f32_16x16x32_fp8_fp8 v[116:119], a[100:101], a[20:21], v[116:119]// 000000004818: D3F30074 1DD22964
	v_mfma_f32_16x16x32_fp8_fp8 v[116:119], a[102:103], a[22:23], v[116:119]// 000000004820: D3F30074 1DD22D66
	ds_read_b128 a[0:3], v2 offset:4224                        // 000000004828: DBFE1080 00000002
	ds_read_b128 a[4:7], v2 offset:4288                        // 000000004830: DBFE10C0 04000002
	v_mfma_f32_16x16x32_fp8_fp8 v[124:127], a[104:105], a[16:17], v[124:127]// 000000004838: D3F3007C 1DF22168
	v_mfma_f32_16x16x32_fp8_fp8 v[124:127], a[106:107], a[18:19], v[124:127]// 000000004840: D3F3007C 1DF2256A
	buffer_load_dwordx4 a[36:39], v43, s[84:87], 0 offen offset:1024// 000000004848: E05C1400 8095242B
	v_mfma_f32_16x16x32_fp8_fp8 v[124:127], a[108:109], a[20:21], v[124:127]// 000000004850: D3F3007C 1DF2296C
	v_mfma_f32_16x16x32_fp8_fp8 v[124:127], a[110:111], a[22:23], v[124:127]// 000000004858: D3F3007C 1DF22D6E
	ds_read_b128 a[8:11], v2 offset:4736                       // 000000004860: DBFE1280 08000002
	ds_read_b128 a[12:15], v2 offset:4800                      // 000000004868: DBFE12C0 0C000002
	v_mfma_f32_16x16x32_fp8_fp8 v[132:135], a[112:113], a[16:17], v[132:135]// 000000004870: D3F30084 1E122170
	v_mfma_f32_16x16x32_fp8_fp8 v[132:135], a[114:115], a[18:19], v[132:135]// 000000004878: D3F30084 1E122572
	buffer_load_dwordx4 a[40:43], v44, s[84:87], 0 offen       // 000000004880: E05C1000 8095282C
	v_mfma_f32_16x16x32_fp8_fp8 v[132:135], a[116:117], a[20:21], v[132:135]// 000000004888: D3F30084 1E122974
	v_mfma_f32_16x16x32_fp8_fp8 v[132:135], a[118:119], a[22:23], v[132:135]// 000000004890: D3F30084 1E122D76
	v_mfma_f32_16x16x32_fp8_fp8 v[140:143], a[120:121], a[16:17], v[140:143]// 000000004898: D3F3008C 1E322178
	v_mfma_f32_16x16x32_fp8_fp8 v[140:143], a[122:123], a[18:19], v[140:143]// 0000000048A0: D3F3008C 1E32257A
	buffer_load_dwordx4 a[44:47], v44, s[84:87], 0 offen offset:1024// 0000000048A8: E05C1400 80952C2C
	v_mfma_f32_16x16x32_fp8_fp8 v[140:143], a[124:125], a[20:21], v[140:143]// 0000000048B0: D3F3008C 1E32297C
	v_mfma_f32_16x16x32_fp8_fp8 v[140:143], a[126:127], a[22:23], v[140:143]// 0000000048B8: D3F3008C 1E322D7E
	v_mfma_f32_16x16x32_fp8_fp8 v[148:151], a[128:129], a[16:17], v[148:151]// 0000000048C0: D3F30094 1E522180
	v_mfma_f32_16x16x32_fp8_fp8 v[148:151], a[130:131], a[18:19], v[148:151]// 0000000048C8: D3F30094 1E522582
	buffer_load_dwordx4 a[48:51], v45, s[84:87], 0 offen       // 0000000048D0: E05C1000 8095302D
	v_mfma_f32_16x16x32_fp8_fp8 v[148:151], a[132:133], a[20:21], v[148:151]// 0000000048D8: D3F30094 1E522984
	v_mfma_f32_16x16x32_fp8_fp8 v[148:151], a[134:135], a[22:23], v[148:151]// 0000000048E0: D3F30094 1E522D86
	v_mfma_f32_16x16x32_fp8_fp8 v[156:159], a[136:137], a[16:17], v[156:159]// 0000000048E8: D3F3009C 1E722188
	v_mfma_f32_16x16x32_fp8_fp8 v[156:159], a[138:139], a[18:19], v[156:159]// 0000000048F0: D3F3009C 1E72258A
	buffer_load_dwordx4 a[52:55], v45, s[84:87], 0 offen offset:1024// 0000000048F8: E05C1400 8095342D
	v_mfma_f32_16x16x32_fp8_fp8 v[156:159], a[140:141], a[20:21], v[156:159]// 000000004900: D3F3009C 1E72298C
	v_mfma_f32_16x16x32_fp8_fp8 v[156:159], a[142:143], a[22:23], v[156:159]// 000000004908: D3F3009C 1E722D8E
	v_mfma_f32_16x16x32_fp8_fp8 v[164:167], a[144:145], a[16:17], v[164:167]// 000000004910: D3F300A4 1E922190
	v_mfma_f32_16x16x32_fp8_fp8 v[164:167], a[146:147], a[18:19], v[164:167]// 000000004918: D3F300A4 1E922592
	buffer_load_dwordx4 a[56:59], v46, s[84:87], 0 offen       // 000000004920: E05C1000 8095382E
	v_mfma_f32_16x16x32_fp8_fp8 v[164:167], a[148:149], a[20:21], v[164:167]// 000000004928: D3F300A4 1E922994
	v_mfma_f32_16x16x32_fp8_fp8 v[164:167], a[150:151], a[22:23], v[164:167]// 000000004930: D3F300A4 1E922D96
	v_mfma_f32_16x16x32_fp8_fp8 v[172:175], a[152:153], a[16:17], v[172:175]// 000000004938: D3F300AC 1EB22198
	v_mfma_f32_16x16x32_fp8_fp8 v[172:175], a[154:155], a[18:19], v[172:175]// 000000004940: D3F300AC 1EB2259A
	buffer_load_dwordx4 a[60:63], v46, s[84:87], 0 offen offset:1024// 000000004948: E05C1400 80953C2E
	v_mfma_f32_16x16x32_fp8_fp8 v[172:175], a[156:157], a[20:21], v[172:175]// 000000004950: D3F300AC 1EB2299C
	v_mfma_f32_16x16x32_fp8_fp8 v[172:175], a[158:159], a[22:23], v[172:175]// 000000004958: D3F300AC 1EB22D9E
	v_mfma_f32_16x16x32_fp8_fp8 v[120:123], a[96:97], a[24:25], v[120:123]// 000000004960: D3F30078 1DE23160
	v_mfma_f32_16x16x32_fp8_fp8 v[120:123], a[98:99], a[26:27], v[120:123]// 000000004968: D3F30078 1DE23562
	buffer_load_dwordx4 a[64:67], v47, s[84:87], 0 offen       // 000000004970: E05C1000 8095402F
	v_mfma_f32_16x16x32_fp8_fp8 v[120:123], a[100:101], a[28:29], v[120:123]// 000000004978: D3F30078 1DE23964
	v_mfma_f32_16x16x32_fp8_fp8 v[120:123], a[102:103], a[30:31], v[120:123]// 000000004980: D3F30078 1DE23D66
	v_mfma_f32_16x16x32_fp8_fp8 v[128:131], a[104:105], a[24:25], v[128:131]// 000000004988: D3F30080 1E023168
	v_mfma_f32_16x16x32_fp8_fp8 v[128:131], a[106:107], a[26:27], v[128:131]// 000000004990: D3F30080 1E02356A
	buffer_load_dwordx4 a[68:71], v47, s[84:87], 0 offen offset:1024// 000000004998: E05C1400 8095442F
	v_mfma_f32_16x16x32_fp8_fp8 v[128:131], a[108:109], a[28:29], v[128:131]// 0000000049A0: D3F30080 1E02396C
	v_mfma_f32_16x16x32_fp8_fp8 v[128:131], a[110:111], a[30:31], v[128:131]// 0000000049A8: D3F30080 1E023D6E
	v_mfma_f32_16x16x32_fp8_fp8 v[136:139], a[112:113], a[24:25], v[136:139]// 0000000049B0: D3F30088 1E223170
	v_mfma_f32_16x16x32_fp8_fp8 v[136:139], a[114:115], a[26:27], v[136:139]// 0000000049B8: D3F30088 1E223572
	buffer_load_dwordx4 a[72:75], v48, s[84:87], 0 offen       // 0000000049C0: E05C1000 80954830
	v_mfma_f32_16x16x32_fp8_fp8 v[136:139], a[116:117], a[28:29], v[136:139]// 0000000049C8: D3F30088 1E223974
	v_mfma_f32_16x16x32_fp8_fp8 v[136:139], a[118:119], a[30:31], v[136:139]// 0000000049D0: D3F30088 1E223D76
	v_mfma_f32_16x16x32_fp8_fp8 v[144:147], a[120:121], a[24:25], v[144:147]// 0000000049D8: D3F30090 1E423178
	v_mfma_f32_16x16x32_fp8_fp8 v[144:147], a[122:123], a[26:27], v[144:147]// 0000000049E0: D3F30090 1E42357A
	buffer_load_dwordx4 a[76:79], v48, s[84:87], 0 offen offset:1024// 0000000049E8: E05C1400 80954C30
	v_mfma_f32_16x16x32_fp8_fp8 v[144:147], a[124:125], a[28:29], v[144:147]// 0000000049F0: D3F30090 1E42397C
	v_mfma_f32_16x16x32_fp8_fp8 v[144:147], a[126:127], a[30:31], v[144:147]// 0000000049F8: D3F30090 1E423D7E
	v_mfma_f32_16x16x32_fp8_fp8 v[152:155], a[128:129], a[24:25], v[152:155]// 000000004A00: D3F30098 1E623180
	v_mfma_f32_16x16x32_fp8_fp8 v[152:155], a[130:131], a[26:27], v[152:155]// 000000004A08: D3F30098 1E623582
	buffer_load_dwordx4 a[80:83], v49, s[84:87], 0 offen       // 000000004A10: E05C1000 80955031
	v_mfma_f32_16x16x32_fp8_fp8 v[152:155], a[132:133], a[28:29], v[152:155]// 000000004A18: D3F30098 1E623984
	v_mfma_f32_16x16x32_fp8_fp8 v[152:155], a[134:135], a[30:31], v[152:155]// 000000004A20: D3F30098 1E623D86
	v_mfma_f32_16x16x32_fp8_fp8 v[160:163], a[136:137], a[24:25], v[160:163]// 000000004A28: D3F300A0 1E823188
	v_mfma_f32_16x16x32_fp8_fp8 v[160:163], a[138:139], a[26:27], v[160:163]// 000000004A30: D3F300A0 1E82358A
	buffer_load_dwordx4 a[84:87], v49, s[84:87], 0 offen offset:1024// 000000004A38: E05C1400 80955431
	v_mfma_f32_16x16x32_fp8_fp8 v[160:163], a[140:141], a[28:29], v[160:163]// 000000004A40: D3F300A0 1E82398C
	v_mfma_f32_16x16x32_fp8_fp8 v[160:163], a[142:143], a[30:31], v[160:163]// 000000004A48: D3F300A0 1E823D8E
	v_mfma_f32_16x16x32_fp8_fp8 v[168:171], a[144:145], a[24:25], v[168:171]// 000000004A50: D3F300A8 1EA23190
	s_add_u32 s60, 0x180, s80                                  // 000000004A58: 803C50FF 00000180
	s_cmp_lt_u32 s60, s81                                      // 000000004A60: BF0A513C
	s_cselect_b32 s57, s57, 0                                  // 000000004A64: 85398039
	v_mfma_f32_16x16x32_fp8_fp8 v[168:171], a[146:147], a[26:27], v[168:171]// 000000004A68: D3F300A8 1EA23592
	buffer_load_dwordx4 a[88:91], v50, s[84:87], 0 offen       // 000000004A70: E05C1000 80955832
	s_add_u32 s60, 0x100, s80                                  // 000000004A78: 803C50FF 00000100
	s_cmp_lt_u32 s60, s81                                      // 000000004A80: BF0A513C
	s_cselect_b32 s58, s58, 0                                  // 000000004A84: 853A803A
	v_mfma_f32_16x16x32_fp8_fp8 v[168:171], a[148:149], a[28:29], v[168:171]// 000000004A88: D3F300A8 1EA23994
	s_add_u32 s60, 0x100, s80                                  // 000000004A90: 803C50FF 00000100
	s_cmp_lt_u32 s60, s81                                      // 000000004A98: BF0A513C
	s_cselect_b32 s83, s83, 0                                  // 000000004A9C: 85538053
	v_mfma_f32_16x16x32_fp8_fp8 v[168:171], a[150:151], a[30:31], v[168:171]// 000000004AA0: D3F300A8 1EA23D96
	s_add_u32 s24, s58, s24                                    // 000000004AA8: 8018183A
	s_addc_u32 s25, 0, s25                                     // 000000004AAC: 82191980
	v_mfma_f32_16x16x32_fp8_fp8 v[176:179], a[152:153], a[24:25], v[176:179]// 000000004AB0: D3F300B0 1EC23198
	s_add_u32 s20, s57, s20                                    // 000000004AB8: 80141439
	s_addc_u32 s21, 0, s21                                     // 000000004ABC: 82151580
	v_mfma_f32_16x16x32_fp8_fp8 v[176:179], a[154:155], a[26:27], v[176:179]// 000000004AC0: D3F300B0 1EC2359A
	buffer_load_dwordx4 a[92:95], v50, s[84:87], 0 offen offset:1024// 000000004AC8: E05C1400 80955C32
	s_add_u32 s84, s83, s84                                    // 000000004AD0: 80545453
	s_addc_u32 s85, 0, s85                                     // 000000004AD4: 82555580
	v_mfma_f32_16x16x32_fp8_fp8 v[176:179], a[156:157], a[28:29], v[176:179]// 000000004AD8: D3F300B0 1EC2399C
	v_mfma_f32_16x16x32_fp8_fp8 v[176:179], a[158:159], a[30:31], v[176:179]// 000000004AE0: D3F300B0 1EC23D9E
	s_addk_i32 s80, 0x80                                       // 000000004AE8: B7500080
	s_cmp_lt_i32 s80, s81                                      // 000000004AEC: BF045150
	s_cbranch_scc0 label_0B1C                                  // 000000004AF0: BF8402DF
	s_waitcnt vmcnt(20) lgkmcnt(0)                             // 000000004AF4: BF8C4074
	v_mfma_f32_16x16x32_fp8_fp8 v[52:55], a[160:161], a[0:1], v[52:55]// 000000004AF8: D3F30034 1CD201A0
	v_mfma_f32_16x16x32_fp8_fp8 v[52:55], a[162:163], a[2:3], v[52:55]// 000000004B00: D3F30034 1CD205A2
	buffer_load_dwordx4 a[96:99], v43, s[24:27], 0 offen       // 000000004B08: E05C1000 8086602B
	v_mfma_f32_16x16x32_fp8_fp8 v[52:55], a[164:165], a[4:5], v[52:55]// 000000004B10: D3F30034 1CD209A4
	v_mfma_f32_16x16x32_fp8_fp8 v[52:55], a[166:167], a[6:7], v[52:55]// 000000004B18: D3F30034 1CD20DA6
	v_mfma_f32_16x16x32_fp8_fp8 v[60:63], a[168:169], a[0:1], v[60:63]// 000000004B20: D3F3003C 1CF201A8
	v_mfma_f32_16x16x32_fp8_fp8 v[60:63], a[170:171], a[2:3], v[60:63]// 000000004B28: D3F3003C 1CF205AA
	buffer_load_dwordx4 a[100:103], v43, s[24:27], 0 offen offset:1024// 000000004B30: E05C1400 8086642B
	v_mfma_f32_16x16x32_fp8_fp8 v[60:63], a[172:173], a[4:5], v[60:63]// 000000004B38: D3F3003C 1CF209AC
	v_mfma_f32_16x16x32_fp8_fp8 v[60:63], a[174:175], a[6:7], v[60:63]// 000000004B40: D3F3003C 1CF20DAE
	v_mfma_f32_16x16x32_fp8_fp8 v[68:71], a[176:177], a[0:1], v[68:71]// 000000004B48: D3F30044 1D1201B0
	v_mfma_f32_16x16x32_fp8_fp8 v[68:71], a[178:179], a[2:3], v[68:71]// 000000004B50: D3F30044 1D1205B2
	buffer_load_dwordx4 a[104:107], v44, s[24:27], 0 offen     // 000000004B58: E05C1000 8086682C
	v_mfma_f32_16x16x32_fp8_fp8 v[68:71], a[180:181], a[4:5], v[68:71]// 000000004B60: D3F30044 1D1209B4
	v_mfma_f32_16x16x32_fp8_fp8 v[68:71], a[182:183], a[6:7], v[68:71]// 000000004B68: D3F30044 1D120DB6
	v_mfma_f32_16x16x32_fp8_fp8 v[76:79], a[184:185], a[0:1], v[76:79]// 000000004B70: D3F3004C 1D3201B8
	v_mfma_f32_16x16x32_fp8_fp8 v[76:79], a[186:187], a[2:3], v[76:79]// 000000004B78: D3F3004C 1D3205BA
	buffer_load_dwordx4 a[108:111], v44, s[24:27], 0 offen offset:1024// 000000004B80: E05C1400 80866C2C
	v_mfma_f32_16x16x32_fp8_fp8 v[76:79], a[188:189], a[4:5], v[76:79]// 000000004B88: D3F3004C 1D3209BC
	v_mfma_f32_16x16x32_fp8_fp8 v[76:79], a[190:191], a[6:7], v[76:79]// 000000004B90: D3F3004C 1D320DBE
	v_mfma_f32_16x16x32_fp8_fp8 v[84:87], a[192:193], a[0:1], v[84:87]// 000000004B98: D3F30054 1D5201C0
	v_mfma_f32_16x16x32_fp8_fp8 v[84:87], a[194:195], a[2:3], v[84:87]// 000000004BA0: D3F30054 1D5205C2
	buffer_load_dwordx4 a[112:115], v45, s[24:27], 0 offen     // 000000004BA8: E05C1000 8086702D
	v_mfma_f32_16x16x32_fp8_fp8 v[84:87], a[196:197], a[4:5], v[84:87]// 000000004BB0: D3F30054 1D5209C4
	v_mfma_f32_16x16x32_fp8_fp8 v[84:87], a[198:199], a[6:7], v[84:87]// 000000004BB8: D3F30054 1D520DC6
	v_mfma_f32_16x16x32_fp8_fp8 v[92:95], a[200:201], a[0:1], v[92:95]// 000000004BC0: D3F3005C 1D7201C8
	v_mfma_f32_16x16x32_fp8_fp8 v[92:95], a[202:203], a[2:3], v[92:95]// 000000004BC8: D3F3005C 1D7205CA
	buffer_load_dwordx4 a[116:119], v45, s[24:27], 0 offen offset:1024// 000000004BD0: E05C1400 8086742D
	v_mfma_f32_16x16x32_fp8_fp8 v[92:95], a[204:205], a[4:5], v[92:95]// 000000004BD8: D3F3005C 1D7209CC
	v_mfma_f32_16x16x32_fp8_fp8 v[92:95], a[206:207], a[6:7], v[92:95]// 000000004BE0: D3F3005C 1D720DCE
	v_mfma_f32_16x16x32_fp8_fp8 v[100:103], a[208:209], a[0:1], v[100:103]// 000000004BE8: D3F30064 1D9201D0
	v_mfma_f32_16x16x32_fp8_fp8 v[100:103], a[210:211], a[2:3], v[100:103]// 000000004BF0: D3F30064 1D9205D2
	buffer_load_dwordx4 a[120:123], v46, s[24:27], 0 offen     // 000000004BF8: E05C1000 8086782E
	v_mfma_f32_16x16x32_fp8_fp8 v[100:103], a[212:213], a[4:5], v[100:103]// 000000004C00: D3F30064 1D9209D4
	v_mfma_f32_16x16x32_fp8_fp8 v[100:103], a[214:215], a[6:7], v[100:103]// 000000004C08: D3F30064 1D920DD6
	v_mfma_f32_16x16x32_fp8_fp8 v[108:111], a[216:217], a[0:1], v[108:111]// 000000004C10: D3F3006C 1DB201D8
	v_mfma_f32_16x16x32_fp8_fp8 v[108:111], a[218:219], a[2:3], v[108:111]// 000000004C18: D3F3006C 1DB205DA
	buffer_load_dwordx4 a[124:127], v46, s[24:27], 0 offen offset:1024// 000000004C20: E05C1400 80867C2E
	v_mfma_f32_16x16x32_fp8_fp8 v[108:111], a[220:221], a[4:5], v[108:111]// 000000004C28: D3F3006C 1DB209DC
	v_mfma_f32_16x16x32_fp8_fp8 v[108:111], a[222:223], a[6:7], v[108:111]// 000000004C30: D3F3006C 1DB20DDE
	v_mfma_f32_16x16x32_fp8_fp8 v[56:59], a[160:161], a[8:9], v[56:59]// 000000004C38: D3F30038 1CE211A0
	v_mfma_f32_16x16x32_fp8_fp8 v[56:59], a[162:163], a[10:11], v[56:59]// 000000004C40: D3F30038 1CE215A2
	buffer_load_dwordx4 a[128:131], v47, s[24:27], 0 offen     // 000000004C48: E05C1000 8086802F
	v_mfma_f32_16x16x32_fp8_fp8 v[56:59], a[164:165], a[12:13], v[56:59]// 000000004C50: D3F30038 1CE219A4
	v_mfma_f32_16x16x32_fp8_fp8 v[56:59], a[166:167], a[14:15], v[56:59]// 000000004C58: D3F30038 1CE21DA6
	v_mfma_f32_16x16x32_fp8_fp8 v[64:67], a[168:169], a[8:9], v[64:67]// 000000004C60: D3F30040 1D0211A8
	v_mfma_f32_16x16x32_fp8_fp8 v[64:67], a[170:171], a[10:11], v[64:67]// 000000004C68: D3F30040 1D0215AA
	buffer_load_dwordx4 a[132:135], v47, s[24:27], 0 offen offset:1024// 000000004C70: E05C1400 8086842F
	v_mfma_f32_16x16x32_fp8_fp8 v[64:67], a[172:173], a[12:13], v[64:67]// 000000004C78: D3F30040 1D0219AC
	v_mfma_f32_16x16x32_fp8_fp8 v[64:67], a[174:175], a[14:15], v[64:67]// 000000004C80: D3F30040 1D021DAE
	v_mfma_f32_16x16x32_fp8_fp8 v[72:75], a[176:177], a[8:9], v[72:75]// 000000004C88: D3F30048 1D2211B0
	v_mfma_f32_16x16x32_fp8_fp8 v[72:75], a[178:179], a[10:11], v[72:75]// 000000004C90: D3F30048 1D2215B2
	buffer_load_dwordx4 a[136:139], v48, s[24:27], 0 offen     // 000000004C98: E05C1000 80868830
	v_mfma_f32_16x16x32_fp8_fp8 v[72:75], a[180:181], a[12:13], v[72:75]// 000000004CA0: D3F30048 1D2219B4
	v_mfma_f32_16x16x32_fp8_fp8 v[72:75], a[182:183], a[14:15], v[72:75]// 000000004CA8: D3F30048 1D221DB6
	v_mfma_f32_16x16x32_fp8_fp8 v[80:83], a[184:185], a[8:9], v[80:83]// 000000004CB0: D3F30050 1D4211B8
	v_mfma_f32_16x16x32_fp8_fp8 v[80:83], a[186:187], a[10:11], v[80:83]// 000000004CB8: D3F30050 1D4215BA
	buffer_load_dwordx4 a[140:143], v48, s[24:27], 0 offen offset:1024// 000000004CC0: E05C1400 80868C30
	v_mfma_f32_16x16x32_fp8_fp8 v[80:83], a[188:189], a[12:13], v[80:83]// 000000004CC8: D3F30050 1D4219BC
	v_mfma_f32_16x16x32_fp8_fp8 v[80:83], a[190:191], a[14:15], v[80:83]// 000000004CD0: D3F30050 1D421DBE
	v_mfma_f32_16x16x32_fp8_fp8 v[88:91], a[192:193], a[8:9], v[88:91]// 000000004CD8: D3F30058 1D6211C0
	v_mfma_f32_16x16x32_fp8_fp8 v[88:91], a[194:195], a[10:11], v[88:91]// 000000004CE0: D3F30058 1D6215C2
	buffer_load_dwordx4 a[144:147], v49, s[24:27], 0 offen     // 000000004CE8: E05C1000 80869031
	v_mfma_f32_16x16x32_fp8_fp8 v[88:91], a[196:197], a[12:13], v[88:91]// 000000004CF0: D3F30058 1D6219C4
	v_mfma_f32_16x16x32_fp8_fp8 v[88:91], a[198:199], a[14:15], v[88:91]// 000000004CF8: D3F30058 1D621DC6
	v_mfma_f32_16x16x32_fp8_fp8 v[96:99], a[200:201], a[8:9], v[96:99]// 000000004D00: D3F30060 1D8211C8
	v_mfma_f32_16x16x32_fp8_fp8 v[96:99], a[202:203], a[10:11], v[96:99]// 000000004D08: D3F30060 1D8215CA
	buffer_load_dwordx4 a[148:151], v49, s[24:27], 0 offen offset:1024// 000000004D10: E05C1400 80869431
	v_mfma_f32_16x16x32_fp8_fp8 v[96:99], a[204:205], a[12:13], v[96:99]// 000000004D18: D3F30060 1D8219CC
	v_mfma_f32_16x16x32_fp8_fp8 v[96:99], a[206:207], a[14:15], v[96:99]// 000000004D20: D3F30060 1D821DCE
	v_mfma_f32_16x16x32_fp8_fp8 v[104:107], a[208:209], a[8:9], v[104:107]// 000000004D28: D3F30068 1DA211D0
	v_mfma_f32_16x16x32_fp8_fp8 v[104:107], a[210:211], a[10:11], v[104:107]// 000000004D30: D3F30068 1DA215D2
	buffer_load_dwordx4 a[152:155], v50, s[24:27], 0 offen     // 000000004D38: E05C1000 80869832
	v_mfma_f32_16x16x32_fp8_fp8 v[104:107], a[212:213], a[12:13], v[104:107]// 000000004D40: D3F30068 1DA219D4
	v_mfma_f32_16x16x32_fp8_fp8 v[104:107], a[214:215], a[14:15], v[104:107]// 000000004D48: D3F30068 1DA21DD6
	v_mfma_f32_16x16x32_fp8_fp8 v[112:115], a[216:217], a[8:9], v[112:115]// 000000004D50: D3F30070 1DC211D8
	v_mfma_f32_16x16x32_fp8_fp8 v[112:115], a[218:219], a[10:11], v[112:115]// 000000004D58: D3F30070 1DC215DA
	buffer_load_dwordx4 a[156:159], v50, s[24:27], 0 offen offset:1024// 000000004D60: E05C1400 80869C32
	buffer_load_dword v39, s[20:23], 0 offen lds               // 000000004D68: E0511000 80050027
	s_add_u32 m0, 0x100, s48                                   // 000000004D70: 807C30FF 00000100
	v_mfma_f32_16x16x32_fp8_fp8 v[112:115], a[220:221], a[12:13], v[112:115]// 000000004D78: D3F30070 1DC219DC
	v_mfma_f32_16x16x32_fp8_fp8 v[112:115], a[222:223], a[14:15], v[112:115]// 000000004D80: D3F30070 1DC21DDE
	buffer_load_dword v40, s[20:23], 0 offen lds               // 000000004D88: E0511000 80050028
	s_add_u32 m0, 0x200, s48                                   // 000000004D90: 807C30FF 00000200
	buffer_load_dword v41, s[20:23], 0 offen lds               // 000000004D98: E0511000 80050029
	s_add_u32 m0, 0x300, s48                                   // 000000004DA0: 807C30FF 00000300
	buffer_load_dword v42, s[20:23], 0 offen lds               // 000000004DA8: E0511000 8005002A
	s_add_u32 m0, 0, s49                                       // 000000004DB0: 807C3180
	s_waitcnt vmcnt(20)                                        // 000000004DB4: BF8C4F74
	s_barrier                                                  // 000000004DB8: BF8A0000
	v_mfma_f32_16x16x32_fp8_fp8 v[116:119], a[32:33], a[0:1], v[116:119]// 000000004DBC: D3F30074 1DD20120
	v_mfma_f32_16x16x32_fp8_fp8 v[116:119], a[34:35], a[2:3], v[116:119]// 000000004DC4: D3F30074 1DD20522
	buffer_load_dwordx4 a[160:163], v43, s[84:87], 0 offen     // 000000004DCC: E05C1000 8095A02B
	v_mfma_f32_16x16x32_fp8_fp8 v[116:119], a[36:37], a[4:5], v[116:119]// 000000004DD4: D3F30074 1DD20924
	v_mfma_f32_16x16x32_fp8_fp8 v[116:119], a[38:39], a[6:7], v[116:119]// 000000004DDC: D3F30074 1DD20D26
	ds_read_b128 a[16:19], v2 offset:8448                      // 000000004DE4: DBFE2100 10000002
	ds_read_b128 a[20:23], v2 offset:8512                      // 000000004DEC: DBFE2140 14000002
	v_mfma_f32_16x16x32_fp8_fp8 v[124:127], a[40:41], a[0:1], v[124:127]// 000000004DF4: D3F3007C 1DF20128
	v_mfma_f32_16x16x32_fp8_fp8 v[124:127], a[42:43], a[2:3], v[124:127]// 000000004DFC: D3F3007C 1DF2052A
	buffer_load_dwordx4 a[164:167], v43, s[84:87], 0 offen offset:1024// 000000004E04: E05C1400 8095A42B
	v_mfma_f32_16x16x32_fp8_fp8 v[124:127], a[44:45], a[4:5], v[124:127]// 000000004E0C: D3F3007C 1DF2092C
	v_mfma_f32_16x16x32_fp8_fp8 v[124:127], a[46:47], a[6:7], v[124:127]// 000000004E14: D3F3007C 1DF20D2E
	ds_read_b128 a[24:27], v2 offset:8960                      // 000000004E1C: DBFE2300 18000002
	ds_read_b128 a[28:31], v2 offset:9024                      // 000000004E24: DBFE2340 1C000002
	v_mfma_f32_16x16x32_fp8_fp8 v[132:135], a[48:49], a[0:1], v[132:135]// 000000004E2C: D3F30084 1E120130
	v_mfma_f32_16x16x32_fp8_fp8 v[132:135], a[50:51], a[2:3], v[132:135]// 000000004E34: D3F30084 1E120532
	buffer_load_dwordx4 a[168:171], v44, s[84:87], 0 offen     // 000000004E3C: E05C1000 8095A82C
	v_mfma_f32_16x16x32_fp8_fp8 v[132:135], a[52:53], a[4:5], v[132:135]// 000000004E44: D3F30084 1E120934
	v_mfma_f32_16x16x32_fp8_fp8 v[132:135], a[54:55], a[6:7], v[132:135]// 000000004E4C: D3F30084 1E120D36
	v_mfma_f32_16x16x32_fp8_fp8 v[140:143], a[56:57], a[0:1], v[140:143]// 000000004E54: D3F3008C 1E320138
	v_mfma_f32_16x16x32_fp8_fp8 v[140:143], a[58:59], a[2:3], v[140:143]// 000000004E5C: D3F3008C 1E32053A
	buffer_load_dwordx4 a[172:175], v44, s[84:87], 0 offen offset:1024// 000000004E64: E05C1400 8095AC2C
	v_mfma_f32_16x16x32_fp8_fp8 v[140:143], a[60:61], a[4:5], v[140:143]// 000000004E6C: D3F3008C 1E32093C
	v_mfma_f32_16x16x32_fp8_fp8 v[140:143], a[62:63], a[6:7], v[140:143]// 000000004E74: D3F3008C 1E320D3E
	v_mfma_f32_16x16x32_fp8_fp8 v[148:151], a[64:65], a[0:1], v[148:151]// 000000004E7C: D3F30094 1E520140
	v_mfma_f32_16x16x32_fp8_fp8 v[148:151], a[66:67], a[2:3], v[148:151]// 000000004E84: D3F30094 1E520542
	buffer_load_dwordx4 a[176:179], v45, s[84:87], 0 offen     // 000000004E8C: E05C1000 8095B02D
	v_mfma_f32_16x16x32_fp8_fp8 v[148:151], a[68:69], a[4:5], v[148:151]// 000000004E94: D3F30094 1E520944
	v_mfma_f32_16x16x32_fp8_fp8 v[148:151], a[70:71], a[6:7], v[148:151]// 000000004E9C: D3F30094 1E520D46
	v_mfma_f32_16x16x32_fp8_fp8 v[156:159], a[72:73], a[0:1], v[156:159]// 000000004EA4: D3F3009C 1E720148
	v_mfma_f32_16x16x32_fp8_fp8 v[156:159], a[74:75], a[2:3], v[156:159]// 000000004EAC: D3F3009C 1E72054A
	buffer_load_dwordx4 a[180:183], v45, s[84:87], 0 offen offset:1024// 000000004EB4: E05C1400 8095B42D
	v_mfma_f32_16x16x32_fp8_fp8 v[156:159], a[76:77], a[4:5], v[156:159]// 000000004EBC: D3F3009C 1E72094C
	v_mfma_f32_16x16x32_fp8_fp8 v[156:159], a[78:79], a[6:7], v[156:159]// 000000004EC4: D3F3009C 1E720D4E
	v_mfma_f32_16x16x32_fp8_fp8 v[164:167], a[80:81], a[0:1], v[164:167]// 000000004ECC: D3F300A4 1E920150
	v_mfma_f32_16x16x32_fp8_fp8 v[164:167], a[82:83], a[2:3], v[164:167]// 000000004ED4: D3F300A4 1E920552
	buffer_load_dwordx4 a[184:187], v46, s[84:87], 0 offen     // 000000004EDC: E05C1000 8095B82E
	v_mfma_f32_16x16x32_fp8_fp8 v[164:167], a[84:85], a[4:5], v[164:167]// 000000004EE4: D3F300A4 1E920954
	v_mfma_f32_16x16x32_fp8_fp8 v[164:167], a[86:87], a[6:7], v[164:167]// 000000004EEC: D3F300A4 1E920D56
	v_mfma_f32_16x16x32_fp8_fp8 v[172:175], a[88:89], a[0:1], v[172:175]// 000000004EF4: D3F300AC 1EB20158
	v_mfma_f32_16x16x32_fp8_fp8 v[172:175], a[90:91], a[2:3], v[172:175]// 000000004EFC: D3F300AC 1EB2055A
	buffer_load_dwordx4 a[188:191], v46, s[84:87], 0 offen offset:1024// 000000004F04: E05C1400 8095BC2E
	v_mfma_f32_16x16x32_fp8_fp8 v[172:175], a[92:93], a[4:5], v[172:175]// 000000004F0C: D3F300AC 1EB2095C
	v_mfma_f32_16x16x32_fp8_fp8 v[172:175], a[94:95], a[6:7], v[172:175]// 000000004F14: D3F300AC 1EB20D5E
	v_mfma_f32_16x16x32_fp8_fp8 v[120:123], a[32:33], a[8:9], v[120:123]// 000000004F1C: D3F30078 1DE21120
	v_mfma_f32_16x16x32_fp8_fp8 v[120:123], a[34:35], a[10:11], v[120:123]// 000000004F24: D3F30078 1DE21522
	buffer_load_dwordx4 a[192:195], v47, s[84:87], 0 offen     // 000000004F2C: E05C1000 8095C02F
	v_mfma_f32_16x16x32_fp8_fp8 v[120:123], a[36:37], a[12:13], v[120:123]// 000000004F34: D3F30078 1DE21924
	v_mfma_f32_16x16x32_fp8_fp8 v[120:123], a[38:39], a[14:15], v[120:123]// 000000004F3C: D3F30078 1DE21D26
	v_mfma_f32_16x16x32_fp8_fp8 v[128:131], a[40:41], a[8:9], v[128:131]// 000000004F44: D3F30080 1E021128
	v_mfma_f32_16x16x32_fp8_fp8 v[128:131], a[42:43], a[10:11], v[128:131]// 000000004F4C: D3F30080 1E02152A
	buffer_load_dwordx4 a[196:199], v47, s[84:87], 0 offen offset:1024// 000000004F54: E05C1400 8095C42F
	v_mfma_f32_16x16x32_fp8_fp8 v[128:131], a[44:45], a[12:13], v[128:131]// 000000004F5C: D3F30080 1E02192C
	v_mfma_f32_16x16x32_fp8_fp8 v[128:131], a[46:47], a[14:15], v[128:131]// 000000004F64: D3F30080 1E021D2E
	v_mfma_f32_16x16x32_fp8_fp8 v[136:139], a[48:49], a[8:9], v[136:139]// 000000004F6C: D3F30088 1E221130
	v_mfma_f32_16x16x32_fp8_fp8 v[136:139], a[50:51], a[10:11], v[136:139]// 000000004F74: D3F30088 1E221532
	buffer_load_dwordx4 a[200:203], v48, s[84:87], 0 offen     // 000000004F7C: E05C1000 8095C830
	v_mfma_f32_16x16x32_fp8_fp8 v[136:139], a[52:53], a[12:13], v[136:139]// 000000004F84: D3F30088 1E221934
	v_mfma_f32_16x16x32_fp8_fp8 v[136:139], a[54:55], a[14:15], v[136:139]// 000000004F8C: D3F30088 1E221D36
	v_mfma_f32_16x16x32_fp8_fp8 v[144:147], a[56:57], a[8:9], v[144:147]// 000000004F94: D3F30090 1E421138
	v_mfma_f32_16x16x32_fp8_fp8 v[144:147], a[58:59], a[10:11], v[144:147]// 000000004F9C: D3F30090 1E42153A
	buffer_load_dwordx4 a[204:207], v48, s[84:87], 0 offen offset:1024// 000000004FA4: E05C1400 8095CC30
	v_mfma_f32_16x16x32_fp8_fp8 v[144:147], a[60:61], a[12:13], v[144:147]// 000000004FAC: D3F30090 1E42193C
	v_mfma_f32_16x16x32_fp8_fp8 v[144:147], a[62:63], a[14:15], v[144:147]// 000000004FB4: D3F30090 1E421D3E
	v_mfma_f32_16x16x32_fp8_fp8 v[152:155], a[64:65], a[8:9], v[152:155]// 000000004FBC: D3F30098 1E621140
	v_mfma_f32_16x16x32_fp8_fp8 v[152:155], a[66:67], a[10:11], v[152:155]// 000000004FC4: D3F30098 1E621542
	buffer_load_dwordx4 a[208:211], v49, s[84:87], 0 offen     // 000000004FCC: E05C1000 8095D031
	v_mfma_f32_16x16x32_fp8_fp8 v[152:155], a[68:69], a[12:13], v[152:155]// 000000004FD4: D3F30098 1E621944
	v_mfma_f32_16x16x32_fp8_fp8 v[152:155], a[70:71], a[14:15], v[152:155]// 000000004FDC: D3F30098 1E621D46
	v_mfma_f32_16x16x32_fp8_fp8 v[160:163], a[72:73], a[8:9], v[160:163]// 000000004FE4: D3F300A0 1E821148
	v_mfma_f32_16x16x32_fp8_fp8 v[160:163], a[74:75], a[10:11], v[160:163]// 000000004FEC: D3F300A0 1E82154A
	buffer_load_dwordx4 a[212:215], v49, s[84:87], 0 offen offset:1024// 000000004FF4: E05C1400 8095D431
	v_mfma_f32_16x16x32_fp8_fp8 v[160:163], a[76:77], a[12:13], v[160:163]// 000000004FFC: D3F300A0 1E82194C
	v_mfma_f32_16x16x32_fp8_fp8 v[160:163], a[78:79], a[14:15], v[160:163]// 000000005004: D3F300A0 1E821D4E
	v_mfma_f32_16x16x32_fp8_fp8 v[168:171], a[80:81], a[8:9], v[168:171]// 00000000500C: D3F300A8 1EA21150
	s_add_u32 s60, 0x180, s80                                  // 000000005014: 803C50FF 00000180
	s_cmp_lt_u32 s60, s81                                      // 00000000501C: BF0A513C
	s_cselect_b32 s57, s57, 0                                  // 000000005020: 85398039
	v_mfma_f32_16x16x32_fp8_fp8 v[168:171], a[82:83], a[10:11], v[168:171]// 000000005024: D3F300A8 1EA21552
	buffer_load_dwordx4 a[216:219], v50, s[84:87], 0 offen     // 00000000502C: E05C1000 8095D832
	s_add_u32 s60, 0x100, s80                                  // 000000005034: 803C50FF 00000100
	s_cmp_lt_u32 s60, s81                                      // 00000000503C: BF0A513C
	s_cselect_b32 s58, s58, 0                                  // 000000005040: 853A803A
	v_mfma_f32_16x16x32_fp8_fp8 v[168:171], a[84:85], a[12:13], v[168:171]// 000000005044: D3F300A8 1EA21954
	s_add_u32 s60, 0x100, s80                                  // 00000000504C: 803C50FF 00000100
	s_cmp_lt_u32 s60, s81                                      // 000000005054: BF0A513C
	s_cselect_b32 s83, s83, 0                                  // 000000005058: 85538053
	v_mfma_f32_16x16x32_fp8_fp8 v[168:171], a[86:87], a[14:15], v[168:171]// 00000000505C: D3F300A8 1EA21D56
	s_add_u32 s24, s58, s24                                    // 000000005064: 8018183A
	s_addc_u32 s25, 0, s25                                     // 000000005068: 82191980
	v_mfma_f32_16x16x32_fp8_fp8 v[176:179], a[88:89], a[8:9], v[176:179]// 00000000506C: D3F300B0 1EC21158
	s_add_u32 s20, s57, s20                                    // 000000005074: 80141439
	s_addc_u32 s21, 0, s21                                     // 000000005078: 82151580
	v_mfma_f32_16x16x32_fp8_fp8 v[176:179], a[90:91], a[10:11], v[176:179]// 00000000507C: D3F300B0 1EC2155A
	buffer_load_dwordx4 a[220:223], v50, s[84:87], 0 offen offset:1024// 000000005084: E05C1400 8095DC32
	s_add_u32 s84, s83, s84                                    // 00000000508C: 80545453
	s_addc_u32 s85, 0, s85                                     // 000000005090: 82555580
	v_mfma_f32_16x16x32_fp8_fp8 v[176:179], a[92:93], a[12:13], v[176:179]// 000000005094: D3F300B0 1EC2195C
	v_mfma_f32_16x16x32_fp8_fp8 v[176:179], a[94:95], a[14:15], v[176:179]// 00000000509C: D3F300B0 1EC21D5E
	s_addk_i32 s80, 0x80                                       // 0000000050A4: B7500080
	s_cmp_lt_i32 s80, s81                                      // 0000000050A8: BF045150
	s_cbranch_scc0 label_0B1C                                  // 0000000050AC: BF840170
	s_waitcnt vmcnt(20) lgkmcnt(0)                             // 0000000050B0: BF8C4074
	v_mfma_f32_16x16x32_fp8_fp8 v[52:55], a[96:97], a[16:17], v[52:55]// 0000000050B4: D3F30034 1CD22160
	v_mfma_f32_16x16x32_fp8_fp8 v[52:55], a[98:99], a[18:19], v[52:55]// 0000000050BC: D3F30034 1CD22562
	buffer_load_dwordx4 a[32:35], v43, s[24:27], 0 offen       // 0000000050C4: E05C1000 8086202B
	v_mfma_f32_16x16x32_fp8_fp8 v[52:55], a[100:101], a[20:21], v[52:55]// 0000000050CC: D3F30034 1CD22964
	v_mfma_f32_16x16x32_fp8_fp8 v[52:55], a[102:103], a[22:23], v[52:55]// 0000000050D4: D3F30034 1CD22D66
	v_mfma_f32_16x16x32_fp8_fp8 v[60:63], a[104:105], a[16:17], v[60:63]// 0000000050DC: D3F3003C 1CF22168
	v_mfma_f32_16x16x32_fp8_fp8 v[60:63], a[106:107], a[18:19], v[60:63]// 0000000050E4: D3F3003C 1CF2256A
	buffer_load_dwordx4 a[36:39], v43, s[24:27], 0 offen offset:1024// 0000000050EC: E05C1400 8086242B
	v_mfma_f32_16x16x32_fp8_fp8 v[60:63], a[108:109], a[20:21], v[60:63]// 0000000050F4: D3F3003C 1CF2296C
	v_mfma_f32_16x16x32_fp8_fp8 v[60:63], a[110:111], a[22:23], v[60:63]// 0000000050FC: D3F3003C 1CF22D6E
	v_mfma_f32_16x16x32_fp8_fp8 v[68:71], a[112:113], a[16:17], v[68:71]// 000000005104: D3F30044 1D122170
	v_mfma_f32_16x16x32_fp8_fp8 v[68:71], a[114:115], a[18:19], v[68:71]// 00000000510C: D3F30044 1D122572
	buffer_load_dwordx4 a[40:43], v44, s[24:27], 0 offen       // 000000005114: E05C1000 8086282C
	v_mfma_f32_16x16x32_fp8_fp8 v[68:71], a[116:117], a[20:21], v[68:71]// 00000000511C: D3F30044 1D122974
	v_mfma_f32_16x16x32_fp8_fp8 v[68:71], a[118:119], a[22:23], v[68:71]// 000000005124: D3F30044 1D122D76
	v_mfma_f32_16x16x32_fp8_fp8 v[76:79], a[120:121], a[16:17], v[76:79]// 00000000512C: D3F3004C 1D322178
	v_mfma_f32_16x16x32_fp8_fp8 v[76:79], a[122:123], a[18:19], v[76:79]// 000000005134: D3F3004C 1D32257A
	buffer_load_dwordx4 a[44:47], v44, s[24:27], 0 offen offset:1024// 00000000513C: E05C1400 80862C2C
	v_mfma_f32_16x16x32_fp8_fp8 v[76:79], a[124:125], a[20:21], v[76:79]// 000000005144: D3F3004C 1D32297C
	v_mfma_f32_16x16x32_fp8_fp8 v[76:79], a[126:127], a[22:23], v[76:79]// 00000000514C: D3F3004C 1D322D7E
	v_mfma_f32_16x16x32_fp8_fp8 v[84:87], a[128:129], a[16:17], v[84:87]// 000000005154: D3F30054 1D522180
	v_mfma_f32_16x16x32_fp8_fp8 v[84:87], a[130:131], a[18:19], v[84:87]// 00000000515C: D3F30054 1D522582
	buffer_load_dwordx4 a[48:51], v45, s[24:27], 0 offen       // 000000005164: E05C1000 8086302D
	v_mfma_f32_16x16x32_fp8_fp8 v[84:87], a[132:133], a[20:21], v[84:87]// 00000000516C: D3F30054 1D522984
	v_mfma_f32_16x16x32_fp8_fp8 v[84:87], a[134:135], a[22:23], v[84:87]// 000000005174: D3F30054 1D522D86
	v_mfma_f32_16x16x32_fp8_fp8 v[92:95], a[136:137], a[16:17], v[92:95]// 00000000517C: D3F3005C 1D722188
	v_mfma_f32_16x16x32_fp8_fp8 v[92:95], a[138:139], a[18:19], v[92:95]// 000000005184: D3F3005C 1D72258A
	buffer_load_dwordx4 a[52:55], v45, s[24:27], 0 offen offset:1024// 00000000518C: E05C1400 8086342D
	v_mfma_f32_16x16x32_fp8_fp8 v[92:95], a[140:141], a[20:21], v[92:95]// 000000005194: D3F3005C 1D72298C
	v_mfma_f32_16x16x32_fp8_fp8 v[92:95], a[142:143], a[22:23], v[92:95]// 00000000519C: D3F3005C 1D722D8E
	v_mfma_f32_16x16x32_fp8_fp8 v[100:103], a[144:145], a[16:17], v[100:103]// 0000000051A4: D3F30064 1D922190
	v_mfma_f32_16x16x32_fp8_fp8 v[100:103], a[146:147], a[18:19], v[100:103]// 0000000051AC: D3F30064 1D922592
	buffer_load_dwordx4 a[56:59], v46, s[24:27], 0 offen       // 0000000051B4: E05C1000 8086382E
	v_mfma_f32_16x16x32_fp8_fp8 v[100:103], a[148:149], a[20:21], v[100:103]// 0000000051BC: D3F30064 1D922994
	v_mfma_f32_16x16x32_fp8_fp8 v[100:103], a[150:151], a[22:23], v[100:103]// 0000000051C4: D3F30064 1D922D96
	v_mfma_f32_16x16x32_fp8_fp8 v[108:111], a[152:153], a[16:17], v[108:111]// 0000000051CC: D3F3006C 1DB22198
	v_mfma_f32_16x16x32_fp8_fp8 v[108:111], a[154:155], a[18:19], v[108:111]// 0000000051D4: D3F3006C 1DB2259A
	buffer_load_dwordx4 a[60:63], v46, s[24:27], 0 offen offset:1024// 0000000051DC: E05C1400 80863C2E
	v_mfma_f32_16x16x32_fp8_fp8 v[108:111], a[156:157], a[20:21], v[108:111]// 0000000051E4: D3F3006C 1DB2299C
	v_mfma_f32_16x16x32_fp8_fp8 v[108:111], a[158:159], a[22:23], v[108:111]// 0000000051EC: D3F3006C 1DB22D9E
	v_mfma_f32_16x16x32_fp8_fp8 v[56:59], a[96:97], a[24:25], v[56:59]// 0000000051F4: D3F30038 1CE23160
	v_mfma_f32_16x16x32_fp8_fp8 v[56:59], a[98:99], a[26:27], v[56:59]// 0000000051FC: D3F30038 1CE23562
	buffer_load_dwordx4 a[64:67], v47, s[24:27], 0 offen       // 000000005204: E05C1000 8086402F
	v_mfma_f32_16x16x32_fp8_fp8 v[56:59], a[100:101], a[28:29], v[56:59]// 00000000520C: D3F30038 1CE23964
	v_mfma_f32_16x16x32_fp8_fp8 v[56:59], a[102:103], a[30:31], v[56:59]// 000000005214: D3F30038 1CE23D66
	v_mfma_f32_16x16x32_fp8_fp8 v[64:67], a[104:105], a[24:25], v[64:67]// 00000000521C: D3F30040 1D023168
	v_mfma_f32_16x16x32_fp8_fp8 v[64:67], a[106:107], a[26:27], v[64:67]// 000000005224: D3F30040 1D02356A
	buffer_load_dwordx4 a[68:71], v47, s[24:27], 0 offen offset:1024// 00000000522C: E05C1400 8086442F
	v_mfma_f32_16x16x32_fp8_fp8 v[64:67], a[108:109], a[28:29], v[64:67]// 000000005234: D3F30040 1D02396C
	v_mfma_f32_16x16x32_fp8_fp8 v[64:67], a[110:111], a[30:31], v[64:67]// 00000000523C: D3F30040 1D023D6E
	v_mfma_f32_16x16x32_fp8_fp8 v[72:75], a[112:113], a[24:25], v[72:75]// 000000005244: D3F30048 1D223170
	v_mfma_f32_16x16x32_fp8_fp8 v[72:75], a[114:115], a[26:27], v[72:75]// 00000000524C: D3F30048 1D223572
	buffer_load_dwordx4 a[72:75], v48, s[24:27], 0 offen       // 000000005254: E05C1000 80864830
	v_mfma_f32_16x16x32_fp8_fp8 v[72:75], a[116:117], a[28:29], v[72:75]// 00000000525C: D3F30048 1D223974
	v_mfma_f32_16x16x32_fp8_fp8 v[72:75], a[118:119], a[30:31], v[72:75]// 000000005264: D3F30048 1D223D76
	v_mfma_f32_16x16x32_fp8_fp8 v[80:83], a[120:121], a[24:25], v[80:83]// 00000000526C: D3F30050 1D423178
	v_mfma_f32_16x16x32_fp8_fp8 v[80:83], a[122:123], a[26:27], v[80:83]// 000000005274: D3F30050 1D42357A
	buffer_load_dwordx4 a[76:79], v48, s[24:27], 0 offen offset:1024// 00000000527C: E05C1400 80864C30
	v_mfma_f32_16x16x32_fp8_fp8 v[80:83], a[124:125], a[28:29], v[80:83]// 000000005284: D3F30050 1D42397C
	v_mfma_f32_16x16x32_fp8_fp8 v[80:83], a[126:127], a[30:31], v[80:83]// 00000000528C: D3F30050 1D423D7E
	v_mfma_f32_16x16x32_fp8_fp8 v[88:91], a[128:129], a[24:25], v[88:91]// 000000005294: D3F30058 1D623180
	v_mfma_f32_16x16x32_fp8_fp8 v[88:91], a[130:131], a[26:27], v[88:91]// 00000000529C: D3F30058 1D623582
	buffer_load_dwordx4 a[80:83], v49, s[24:27], 0 offen       // 0000000052A4: E05C1000 80865031
	v_mfma_f32_16x16x32_fp8_fp8 v[88:91], a[132:133], a[28:29], v[88:91]// 0000000052AC: D3F30058 1D623984
	v_mfma_f32_16x16x32_fp8_fp8 v[88:91], a[134:135], a[30:31], v[88:91]// 0000000052B4: D3F30058 1D623D86
	v_mfma_f32_16x16x32_fp8_fp8 v[96:99], a[136:137], a[24:25], v[96:99]// 0000000052BC: D3F30060 1D823188
	v_mfma_f32_16x16x32_fp8_fp8 v[96:99], a[138:139], a[26:27], v[96:99]// 0000000052C4: D3F30060 1D82358A
	buffer_load_dwordx4 a[84:87], v49, s[24:27], 0 offen offset:1024// 0000000052CC: E05C1400 80865431
	v_mfma_f32_16x16x32_fp8_fp8 v[96:99], a[140:141], a[28:29], v[96:99]// 0000000052D4: D3F30060 1D82398C
	v_mfma_f32_16x16x32_fp8_fp8 v[96:99], a[142:143], a[30:31], v[96:99]// 0000000052DC: D3F30060 1D823D8E
	v_mfma_f32_16x16x32_fp8_fp8 v[104:107], a[144:145], a[24:25], v[104:107]// 0000000052E4: D3F30068 1DA23190
	v_mfma_f32_16x16x32_fp8_fp8 v[104:107], a[146:147], a[26:27], v[104:107]// 0000000052EC: D3F30068 1DA23592
	buffer_load_dwordx4 a[88:91], v50, s[24:27], 0 offen       // 0000000052F4: E05C1000 80865832
	v_mfma_f32_16x16x32_fp8_fp8 v[104:107], a[148:149], a[28:29], v[104:107]// 0000000052FC: D3F30068 1DA23994
	v_mfma_f32_16x16x32_fp8_fp8 v[104:107], a[150:151], a[30:31], v[104:107]// 000000005304: D3F30068 1DA23D96
	v_mfma_f32_16x16x32_fp8_fp8 v[112:115], a[152:153], a[24:25], v[112:115]// 00000000530C: D3F30070 1DC23198
	v_mfma_f32_16x16x32_fp8_fp8 v[112:115], a[154:155], a[26:27], v[112:115]// 000000005314: D3F30070 1DC2359A
	buffer_load_dwordx4 a[92:95], v50, s[24:27], 0 offen offset:1024// 00000000531C: E05C1400 80865C32
	buffer_load_dword v39, s[20:23], 0 offen lds               // 000000005324: E0511000 80050027
	s_add_u32 m0, 0x100, s49                                   // 00000000532C: 807C31FF 00000100
	v_mfma_f32_16x16x32_fp8_fp8 v[112:115], a[156:157], a[28:29], v[112:115]// 000000005334: D3F30070 1DC2399C
	v_mfma_f32_16x16x32_fp8_fp8 v[112:115], a[158:159], a[30:31], v[112:115]// 00000000533C: D3F30070 1DC23D9E
	buffer_load_dword v40, s[20:23], 0 offen lds               // 000000005344: E0511000 80050028
	s_add_u32 m0, 0x200, s49                                   // 00000000534C: 807C31FF 00000200
	buffer_load_dword v41, s[20:23], 0 offen lds               // 000000005354: E0511000 80050029
	s_add_u32 m0, 0x300, s49                                   // 00000000535C: 807C31FF 00000300
	buffer_load_dword v42, s[20:23], 0 offen lds               // 000000005364: E0511000 8005002A
	s_add_u32 m0, 0, s50                                       // 00000000536C: 807C3280
	s_waitcnt vmcnt(20)                                        // 000000005370: BF8C4F74
	s_barrier                                                  // 000000005374: BF8A0000
	v_mfma_f32_16x16x32_fp8_fp8 v[116:119], a[160:161], a[16:17], v[116:119]// 000000005378: D3F30074 1DD221A0
	v_mfma_f32_16x16x32_fp8_fp8 v[116:119], a[162:163], a[18:19], v[116:119]// 000000005380: D3F30074 1DD225A2
	buffer_load_dwordx4 a[96:99], v43, s[84:87], 0 offen       // 000000005388: E05C1000 8095602B
	v_mfma_f32_16x16x32_fp8_fp8 v[116:119], a[164:165], a[20:21], v[116:119]// 000000005390: D3F30074 1DD229A4
	v_mfma_f32_16x16x32_fp8_fp8 v[116:119], a[166:167], a[22:23], v[116:119]// 000000005398: D3F30074 1DD22DA6
	ds_read_b128 a[0:3], v2                                    // 0000000053A0: DBFE0000 00000002
	ds_read_b128 a[4:7], v2 offset:64                          // 0000000053A8: DBFE0040 04000002
	v_mfma_f32_16x16x32_fp8_fp8 v[124:127], a[168:169], a[16:17], v[124:127]// 0000000053B0: D3F3007C 1DF221A8
	v_mfma_f32_16x16x32_fp8_fp8 v[124:127], a[170:171], a[18:19], v[124:127]// 0000000053B8: D3F3007C 1DF225AA
	buffer_load_dwordx4 a[100:103], v43, s[84:87], 0 offen offset:1024// 0000000053C0: E05C1400 8095642B
	v_mfma_f32_16x16x32_fp8_fp8 v[124:127], a[172:173], a[20:21], v[124:127]// 0000000053C8: D3F3007C 1DF229AC
	v_mfma_f32_16x16x32_fp8_fp8 v[124:127], a[174:175], a[22:23], v[124:127]// 0000000053D0: D3F3007C 1DF22DAE
	ds_read_b128 a[8:11], v2 offset:512                        // 0000000053D8: DBFE0200 08000002
	ds_read_b128 a[12:15], v2 offset:576                       // 0000000053E0: DBFE0240 0C000002
	v_mfma_f32_16x16x32_fp8_fp8 v[132:135], a[176:177], a[16:17], v[132:135]// 0000000053E8: D3F30084 1E1221B0
	v_mfma_f32_16x16x32_fp8_fp8 v[132:135], a[178:179], a[18:19], v[132:135]// 0000000053F0: D3F30084 1E1225B2
	buffer_load_dwordx4 a[104:107], v44, s[84:87], 0 offen     // 0000000053F8: E05C1000 8095682C
	v_mfma_f32_16x16x32_fp8_fp8 v[132:135], a[180:181], a[20:21], v[132:135]// 000000005400: D3F30084 1E1229B4
	v_mfma_f32_16x16x32_fp8_fp8 v[132:135], a[182:183], a[22:23], v[132:135]// 000000005408: D3F30084 1E122DB6
	v_mfma_f32_16x16x32_fp8_fp8 v[140:143], a[184:185], a[16:17], v[140:143]// 000000005410: D3F3008C 1E3221B8
	v_mfma_f32_16x16x32_fp8_fp8 v[140:143], a[186:187], a[18:19], v[140:143]// 000000005418: D3F3008C 1E3225BA
	buffer_load_dwordx4 a[108:111], v44, s[84:87], 0 offen offset:1024// 000000005420: E05C1400 80956C2C
	v_mfma_f32_16x16x32_fp8_fp8 v[140:143], a[188:189], a[20:21], v[140:143]// 000000005428: D3F3008C 1E3229BC
	v_mfma_f32_16x16x32_fp8_fp8 v[140:143], a[190:191], a[22:23], v[140:143]// 000000005430: D3F3008C 1E322DBE
	v_mfma_f32_16x16x32_fp8_fp8 v[148:151], a[192:193], a[16:17], v[148:151]// 000000005438: D3F30094 1E5221C0
	v_mfma_f32_16x16x32_fp8_fp8 v[148:151], a[194:195], a[18:19], v[148:151]// 000000005440: D3F30094 1E5225C2
	buffer_load_dwordx4 a[112:115], v45, s[84:87], 0 offen     // 000000005448: E05C1000 8095702D
	v_mfma_f32_16x16x32_fp8_fp8 v[148:151], a[196:197], a[20:21], v[148:151]// 000000005450: D3F30094 1E5229C4
	v_mfma_f32_16x16x32_fp8_fp8 v[148:151], a[198:199], a[22:23], v[148:151]// 000000005458: D3F30094 1E522DC6
	v_mfma_f32_16x16x32_fp8_fp8 v[156:159], a[200:201], a[16:17], v[156:159]// 000000005460: D3F3009C 1E7221C8
	v_mfma_f32_16x16x32_fp8_fp8 v[156:159], a[202:203], a[18:19], v[156:159]// 000000005468: D3F3009C 1E7225CA
	buffer_load_dwordx4 a[116:119], v45, s[84:87], 0 offen offset:1024// 000000005470: E05C1400 8095742D
	v_mfma_f32_16x16x32_fp8_fp8 v[156:159], a[204:205], a[20:21], v[156:159]// 000000005478: D3F3009C 1E7229CC
	v_mfma_f32_16x16x32_fp8_fp8 v[156:159], a[206:207], a[22:23], v[156:159]// 000000005480: D3F3009C 1E722DCE
	v_mfma_f32_16x16x32_fp8_fp8 v[164:167], a[208:209], a[16:17], v[164:167]// 000000005488: D3F300A4 1E9221D0
	v_mfma_f32_16x16x32_fp8_fp8 v[164:167], a[210:211], a[18:19], v[164:167]// 000000005490: D3F300A4 1E9225D2
	buffer_load_dwordx4 a[120:123], v46, s[84:87], 0 offen     // 000000005498: E05C1000 8095782E
	v_mfma_f32_16x16x32_fp8_fp8 v[164:167], a[212:213], a[20:21], v[164:167]// 0000000054A0: D3F300A4 1E9229D4
	v_mfma_f32_16x16x32_fp8_fp8 v[164:167], a[214:215], a[22:23], v[164:167]// 0000000054A8: D3F300A4 1E922DD6
	v_mfma_f32_16x16x32_fp8_fp8 v[172:175], a[216:217], a[16:17], v[172:175]// 0000000054B0: D3F300AC 1EB221D8
	v_mfma_f32_16x16x32_fp8_fp8 v[172:175], a[218:219], a[18:19], v[172:175]// 0000000054B8: D3F300AC 1EB225DA
	buffer_load_dwordx4 a[124:127], v46, s[84:87], 0 offen offset:1024// 0000000054C0: E05C1400 80957C2E
	v_mfma_f32_16x16x32_fp8_fp8 v[172:175], a[220:221], a[20:21], v[172:175]// 0000000054C8: D3F300AC 1EB229DC
	v_mfma_f32_16x16x32_fp8_fp8 v[172:175], a[222:223], a[22:23], v[172:175]// 0000000054D0: D3F300AC 1EB22DDE
	v_mfma_f32_16x16x32_fp8_fp8 v[120:123], a[160:161], a[24:25], v[120:123]// 0000000054D8: D3F30078 1DE231A0
	v_mfma_f32_16x16x32_fp8_fp8 v[120:123], a[162:163], a[26:27], v[120:123]// 0000000054E0: D3F30078 1DE235A2
	buffer_load_dwordx4 a[128:131], v47, s[84:87], 0 offen     // 0000000054E8: E05C1000 8095802F
	v_mfma_f32_16x16x32_fp8_fp8 v[120:123], a[164:165], a[28:29], v[120:123]// 0000000054F0: D3F30078 1DE239A4
	v_mfma_f32_16x16x32_fp8_fp8 v[120:123], a[166:167], a[30:31], v[120:123]// 0000000054F8: D3F30078 1DE23DA6
	v_mfma_f32_16x16x32_fp8_fp8 v[128:131], a[168:169], a[24:25], v[128:131]// 000000005500: D3F30080 1E0231A8
	v_mfma_f32_16x16x32_fp8_fp8 v[128:131], a[170:171], a[26:27], v[128:131]// 000000005508: D3F30080 1E0235AA
	buffer_load_dwordx4 a[132:135], v47, s[84:87], 0 offen offset:1024// 000000005510: E05C1400 8095842F
	v_mfma_f32_16x16x32_fp8_fp8 v[128:131], a[172:173], a[28:29], v[128:131]// 000000005518: D3F30080 1E0239AC
	v_mfma_f32_16x16x32_fp8_fp8 v[128:131], a[174:175], a[30:31], v[128:131]// 000000005520: D3F30080 1E023DAE
	v_mfma_f32_16x16x32_fp8_fp8 v[136:139], a[176:177], a[24:25], v[136:139]// 000000005528: D3F30088 1E2231B0
	v_mfma_f32_16x16x32_fp8_fp8 v[136:139], a[178:179], a[26:27], v[136:139]// 000000005530: D3F30088 1E2235B2
	buffer_load_dwordx4 a[136:139], v48, s[84:87], 0 offen     // 000000005538: E05C1000 80958830
	v_mfma_f32_16x16x32_fp8_fp8 v[136:139], a[180:181], a[28:29], v[136:139]// 000000005540: D3F30088 1E2239B4
	v_mfma_f32_16x16x32_fp8_fp8 v[136:139], a[182:183], a[30:31], v[136:139]// 000000005548: D3F30088 1E223DB6
	v_mfma_f32_16x16x32_fp8_fp8 v[144:147], a[184:185], a[24:25], v[144:147]// 000000005550: D3F30090 1E4231B8
	v_mfma_f32_16x16x32_fp8_fp8 v[144:147], a[186:187], a[26:27], v[144:147]// 000000005558: D3F30090 1E4235BA
	buffer_load_dwordx4 a[140:143], v48, s[84:87], 0 offen offset:1024// 000000005560: E05C1400 80958C30
	v_mfma_f32_16x16x32_fp8_fp8 v[144:147], a[188:189], a[28:29], v[144:147]// 000000005568: D3F30090 1E4239BC
	v_mfma_f32_16x16x32_fp8_fp8 v[144:147], a[190:191], a[30:31], v[144:147]// 000000005570: D3F30090 1E423DBE
	v_mfma_f32_16x16x32_fp8_fp8 v[152:155], a[192:193], a[24:25], v[152:155]// 000000005578: D3F30098 1E6231C0
	v_mfma_f32_16x16x32_fp8_fp8 v[152:155], a[194:195], a[26:27], v[152:155]// 000000005580: D3F30098 1E6235C2
	buffer_load_dwordx4 a[144:147], v49, s[84:87], 0 offen     // 000000005588: E05C1000 80959031
	v_mfma_f32_16x16x32_fp8_fp8 v[152:155], a[196:197], a[28:29], v[152:155]// 000000005590: D3F30098 1E6239C4
	v_mfma_f32_16x16x32_fp8_fp8 v[152:155], a[198:199], a[30:31], v[152:155]// 000000005598: D3F30098 1E623DC6
	v_mfma_f32_16x16x32_fp8_fp8 v[160:163], a[200:201], a[24:25], v[160:163]// 0000000055A0: D3F300A0 1E8231C8
	v_mfma_f32_16x16x32_fp8_fp8 v[160:163], a[202:203], a[26:27], v[160:163]// 0000000055A8: D3F300A0 1E8235CA
	buffer_load_dwordx4 a[148:151], v49, s[84:87], 0 offen offset:1024// 0000000055B0: E05C1400 80959431
	v_mfma_f32_16x16x32_fp8_fp8 v[160:163], a[204:205], a[28:29], v[160:163]// 0000000055B8: D3F300A0 1E8239CC
	v_mfma_f32_16x16x32_fp8_fp8 v[160:163], a[206:207], a[30:31], v[160:163]// 0000000055C0: D3F300A0 1E823DCE
	v_mfma_f32_16x16x32_fp8_fp8 v[168:171], a[208:209], a[24:25], v[168:171]// 0000000055C8: D3F300A8 1EA231D0
	s_add_u32 s60, 0x180, s80                                  // 0000000055D0: 803C50FF 00000180
	s_cmp_lt_u32 s60, s81                                      // 0000000055D8: BF0A513C
	s_cselect_b32 s57, s57, 0                                  // 0000000055DC: 85398039
	v_mfma_f32_16x16x32_fp8_fp8 v[168:171], a[210:211], a[26:27], v[168:171]// 0000000055E0: D3F300A8 1EA235D2
	buffer_load_dwordx4 a[152:155], v50, s[84:87], 0 offen     // 0000000055E8: E05C1000 80959832
	s_add_u32 s60, 0x100, s80                                  // 0000000055F0: 803C50FF 00000100
	s_cmp_lt_u32 s60, s81                                      // 0000000055F8: BF0A513C
	s_cselect_b32 s58, s58, 0                                  // 0000000055FC: 853A803A
	v_mfma_f32_16x16x32_fp8_fp8 v[168:171], a[212:213], a[28:29], v[168:171]// 000000005600: D3F300A8 1EA239D4
	s_add_u32 s60, 0x100, s80                                  // 000000005608: 803C50FF 00000100
	s_cmp_lt_u32 s60, s81                                      // 000000005610: BF0A513C
	s_cselect_b32 s83, s83, 0                                  // 000000005614: 85538053
	v_mfma_f32_16x16x32_fp8_fp8 v[168:171], a[214:215], a[30:31], v[168:171]// 000000005618: D3F300A8 1EA23DD6
	s_add_u32 s24, s58, s24                                    // 000000005620: 8018183A
	s_addc_u32 s25, 0, s25                                     // 000000005624: 82191980
	v_mfma_f32_16x16x32_fp8_fp8 v[176:179], a[216:217], a[24:25], v[176:179]// 000000005628: D3F300B0 1EC231D8
	s_add_u32 s20, s57, s20                                    // 000000005630: 80141439
	s_addc_u32 s21, 0, s21                                     // 000000005634: 82151580
	v_mfma_f32_16x16x32_fp8_fp8 v[176:179], a[218:219], a[26:27], v[176:179]// 000000005638: D3F300B0 1EC235DA
	buffer_load_dwordx4 a[156:159], v50, s[84:87], 0 offen offset:1024// 000000005640: E05C1400 80959C32
	s_add_u32 s84, s83, s84                                    // 000000005648: 80545453
	s_addc_u32 s85, 0, s85                                     // 00000000564C: 82555580
	v_mfma_f32_16x16x32_fp8_fp8 v[176:179], a[220:221], a[28:29], v[176:179]// 000000005650: D3F300B0 1EC239DC
	v_mfma_f32_16x16x32_fp8_fp8 v[176:179], a[222:223], a[30:31], v[176:179]// 000000005658: D3F300B0 1EC23DDE
	s_addk_i32 s80, 0x80                                       // 000000005660: B7500080
	s_cmp_lt_i32 s80, s81                                      // 000000005664: BF045150
	s_cbranch_scc0 label_0B1C                                  // 000000005668: BF840001
	s_branch label_0281                                        // 00000000566C: BF82F765

0000000000005670 <label_0B1C>:
	v_mul_f32_dpp v52, v25, v52 row_newbcast:0 row_mask:0xf bank_mask:0xf// 000000005670: 0A6868FA FF015019
	v_mul_f32_dpp v53, v25, v53 row_newbcast:1 row_mask:0xf bank_mask:0xf// 000000005678: 0A6A6AFA FF015119
	v_mul_f32_dpp v54, v25, v54 row_newbcast:2 row_mask:0xf bank_mask:0xf// 000000005680: 0A6C6CFA FF015219
	v_mul_f32_dpp v55, v25, v55 row_newbcast:3 row_mask:0xf bank_mask:0xf// 000000005688: 0A6E6EFA FF015319
	v_mul_f32_dpp v56, v25, v56 row_newbcast:0 row_mask:0xf bank_mask:0xf// 000000005690: 0A7070FA FF015019
	v_mul_f32_dpp v57, v25, v57 row_newbcast:1 row_mask:0xf bank_mask:0xf// 000000005698: 0A7272FA FF015119
	v_mul_f32_dpp v58, v25, v58 row_newbcast:2 row_mask:0xf bank_mask:0xf// 0000000056A0: 0A7474FA FF015219
	v_mul_f32_dpp v59, v25, v59 row_newbcast:3 row_mask:0xf bank_mask:0xf// 0000000056A8: 0A7676FA FF015319
	v_mul_f32_dpp v60, v25, v60 row_newbcast:4 row_mask:0xf bank_mask:0xf// 0000000056B0: 0A7878FA FF015419
	v_mul_f32_dpp v61, v25, v61 row_newbcast:5 row_mask:0xf bank_mask:0xf// 0000000056B8: 0A7A7AFA FF015519
	v_mul_f32_dpp v62, v25, v62 row_newbcast:6 row_mask:0xf bank_mask:0xf// 0000000056C0: 0A7C7CFA FF015619
	v_mul_f32_dpp v63, v25, v63 row_newbcast:7 row_mask:0xf bank_mask:0xf// 0000000056C8: 0A7E7EFA FF015719
	v_mul_f32_dpp v64, v25, v64 row_newbcast:4 row_mask:0xf bank_mask:0xf// 0000000056D0: 0A8080FA FF015419
	v_mul_f32_dpp v65, v25, v65 row_newbcast:5 row_mask:0xf bank_mask:0xf// 0000000056D8: 0A8282FA FF015519
	v_mul_f32_dpp v66, v25, v66 row_newbcast:6 row_mask:0xf bank_mask:0xf// 0000000056E0: 0A8484FA FF015619
	v_mul_f32_dpp v67, v25, v67 row_newbcast:7 row_mask:0xf bank_mask:0xf// 0000000056E8: 0A8686FA FF015719
	v_mul_f32_dpp v68, v25, v68 row_newbcast:8 row_mask:0xf bank_mask:0xf// 0000000056F0: 0A8888FA FF015819
	v_mul_f32_dpp v69, v25, v69 row_newbcast:9 row_mask:0xf bank_mask:0xf// 0000000056F8: 0A8A8AFA FF015919
	v_mul_f32_dpp v70, v25, v70 row_newbcast:10 row_mask:0xf bank_mask:0xf// 000000005700: 0A8C8CFA FF015A19
	v_mul_f32_dpp v71, v25, v71 row_newbcast:11 row_mask:0xf bank_mask:0xf// 000000005708: 0A8E8EFA FF015B19
	v_mul_f32_dpp v72, v25, v72 row_newbcast:8 row_mask:0xf bank_mask:0xf// 000000005710: 0A9090FA FF015819
	v_mul_f32_dpp v73, v25, v73 row_newbcast:9 row_mask:0xf bank_mask:0xf// 000000005718: 0A9292FA FF015919
	v_mul_f32_dpp v74, v25, v74 row_newbcast:10 row_mask:0xf bank_mask:0xf// 000000005720: 0A9494FA FF015A19
	v_mul_f32_dpp v75, v25, v75 row_newbcast:11 row_mask:0xf bank_mask:0xf// 000000005728: 0A9696FA FF015B19
	v_mul_f32_dpp v76, v25, v76 row_newbcast:12 row_mask:0xf bank_mask:0xf// 000000005730: 0A9898FA FF015C19
	v_mul_f32_dpp v77, v25, v77 row_newbcast:13 row_mask:0xf bank_mask:0xf// 000000005738: 0A9A9AFA FF015D19
	v_mul_f32_dpp v78, v25, v78 row_newbcast:14 row_mask:0xf bank_mask:0xf// 000000005740: 0A9C9CFA FF015E19
	v_mul_f32_dpp v79, v25, v79 row_newbcast:15 row_mask:0xf bank_mask:0xf// 000000005748: 0A9E9EFA FF015F19
	v_mul_f32_dpp v80, v25, v80 row_newbcast:12 row_mask:0xf bank_mask:0xf// 000000005750: 0AA0A0FA FF015C19
	v_mul_f32_dpp v81, v25, v81 row_newbcast:13 row_mask:0xf bank_mask:0xf// 000000005758: 0AA2A2FA FF015D19
	v_mul_f32_dpp v82, v25, v82 row_newbcast:14 row_mask:0xf bank_mask:0xf// 000000005760: 0AA4A4FA FF015E19
	v_mul_f32_dpp v83, v25, v83 row_newbcast:15 row_mask:0xf bank_mask:0xf// 000000005768: 0AA6A6FA FF015F19
	v_mul_f32_dpp v84, v26, v84 row_newbcast:0 row_mask:0xf bank_mask:0xf// 000000005770: 0AA8A8FA FF01501A
	v_mul_f32_dpp v85, v26, v85 row_newbcast:1 row_mask:0xf bank_mask:0xf// 000000005778: 0AAAAAFA FF01511A
	v_mul_f32_dpp v86, v26, v86 row_newbcast:2 row_mask:0xf bank_mask:0xf// 000000005780: 0AACACFA FF01521A
	v_mul_f32_dpp v87, v26, v87 row_newbcast:3 row_mask:0xf bank_mask:0xf// 000000005788: 0AAEAEFA FF01531A
	v_mul_f32_dpp v88, v26, v88 row_newbcast:0 row_mask:0xf bank_mask:0xf// 000000005790: 0AB0B0FA FF01501A
	v_mul_f32_dpp v89, v26, v89 row_newbcast:1 row_mask:0xf bank_mask:0xf// 000000005798: 0AB2B2FA FF01511A
	v_mul_f32_dpp v90, v26, v90 row_newbcast:2 row_mask:0xf bank_mask:0xf// 0000000057A0: 0AB4B4FA FF01521A
	v_mul_f32_dpp v91, v26, v91 row_newbcast:3 row_mask:0xf bank_mask:0xf// 0000000057A8: 0AB6B6FA FF01531A
	v_mul_f32_dpp v92, v26, v92 row_newbcast:4 row_mask:0xf bank_mask:0xf// 0000000057B0: 0AB8B8FA FF01541A
	v_mul_f32_dpp v93, v26, v93 row_newbcast:5 row_mask:0xf bank_mask:0xf// 0000000057B8: 0ABABAFA FF01551A
	v_mul_f32_dpp v94, v26, v94 row_newbcast:6 row_mask:0xf bank_mask:0xf// 0000000057C0: 0ABCBCFA FF01561A
	v_mul_f32_dpp v95, v26, v95 row_newbcast:7 row_mask:0xf bank_mask:0xf// 0000000057C8: 0ABEBEFA FF01571A
	v_mul_f32_dpp v96, v26, v96 row_newbcast:4 row_mask:0xf bank_mask:0xf// 0000000057D0: 0AC0C0FA FF01541A
	v_mul_f32_dpp v97, v26, v97 row_newbcast:5 row_mask:0xf bank_mask:0xf// 0000000057D8: 0AC2C2FA FF01551A
	v_mul_f32_dpp v98, v26, v98 row_newbcast:6 row_mask:0xf bank_mask:0xf// 0000000057E0: 0AC4C4FA FF01561A
	v_mul_f32_dpp v99, v26, v99 row_newbcast:7 row_mask:0xf bank_mask:0xf// 0000000057E8: 0AC6C6FA FF01571A
	v_mul_f32_dpp v100, v26, v100 row_newbcast:8 row_mask:0xf bank_mask:0xf// 0000000057F0: 0AC8C8FA FF01581A
	v_mul_f32_dpp v101, v26, v101 row_newbcast:9 row_mask:0xf bank_mask:0xf// 0000000057F8: 0ACACAFA FF01591A
	v_mul_f32_dpp v102, v26, v102 row_newbcast:10 row_mask:0xf bank_mask:0xf// 000000005800: 0ACCCCFA FF015A1A
	v_mul_f32_dpp v103, v26, v103 row_newbcast:11 row_mask:0xf bank_mask:0xf// 000000005808: 0ACECEFA FF015B1A
	v_mul_f32_dpp v104, v26, v104 row_newbcast:8 row_mask:0xf bank_mask:0xf// 000000005810: 0AD0D0FA FF01581A
	v_mul_f32_dpp v105, v26, v105 row_newbcast:9 row_mask:0xf bank_mask:0xf// 000000005818: 0AD2D2FA FF01591A
	v_mul_f32_dpp v106, v26, v106 row_newbcast:10 row_mask:0xf bank_mask:0xf// 000000005820: 0AD4D4FA FF015A1A
	v_mul_f32_dpp v107, v26, v107 row_newbcast:11 row_mask:0xf bank_mask:0xf// 000000005828: 0AD6D6FA FF015B1A
	v_mul_f32_dpp v108, v26, v108 row_newbcast:12 row_mask:0xf bank_mask:0xf// 000000005830: 0AD8D8FA FF015C1A
	v_mul_f32_dpp v109, v26, v109 row_newbcast:13 row_mask:0xf bank_mask:0xf// 000000005838: 0ADADAFA FF015D1A
	v_mul_f32_dpp v110, v26, v110 row_newbcast:14 row_mask:0xf bank_mask:0xf// 000000005840: 0ADCDCFA FF015E1A
	v_mul_f32_dpp v111, v26, v111 row_newbcast:15 row_mask:0xf bank_mask:0xf// 000000005848: 0ADEDEFA FF015F1A
	v_mul_f32_dpp v112, v26, v112 row_newbcast:12 row_mask:0xf bank_mask:0xf// 000000005850: 0AE0E0FA FF015C1A
	v_mul_f32_dpp v113, v26, v113 row_newbcast:13 row_mask:0xf bank_mask:0xf// 000000005858: 0AE2E2FA FF015D1A
	v_mul_f32_dpp v114, v26, v114 row_newbcast:14 row_mask:0xf bank_mask:0xf// 000000005860: 0AE4E4FA FF015E1A
	v_mul_f32_dpp v115, v26, v115 row_newbcast:15 row_mask:0xf bank_mask:0xf// 000000005868: 0AE6E6FA FF015F1A
	v_mul_f32_dpp v116, v28, v116 row_newbcast:0 row_mask:0xf bank_mask:0xf// 000000005870: 0AE8E8FA FF01501C
	v_mul_f32_dpp v117, v28, v117 row_newbcast:1 row_mask:0xf bank_mask:0xf// 000000005878: 0AEAEAFA FF01511C
	v_mul_f32_dpp v118, v28, v118 row_newbcast:2 row_mask:0xf bank_mask:0xf// 000000005880: 0AECECFA FF01521C
	v_mul_f32_dpp v119, v28, v119 row_newbcast:3 row_mask:0xf bank_mask:0xf// 000000005888: 0AEEEEFA FF01531C
	v_mul_f32_dpp v120, v28, v120 row_newbcast:0 row_mask:0xf bank_mask:0xf// 000000005890: 0AF0F0FA FF01501C
	v_mul_f32_dpp v121, v28, v121 row_newbcast:1 row_mask:0xf bank_mask:0xf// 000000005898: 0AF2F2FA FF01511C
	v_mul_f32_dpp v122, v28, v122 row_newbcast:2 row_mask:0xf bank_mask:0xf// 0000000058A0: 0AF4F4FA FF01521C
	v_mul_f32_dpp v123, v28, v123 row_newbcast:3 row_mask:0xf bank_mask:0xf// 0000000058A8: 0AF6F6FA FF01531C
	v_mul_f32_dpp v124, v28, v124 row_newbcast:4 row_mask:0xf bank_mask:0xf// 0000000058B0: 0AF8F8FA FF01541C
	v_mul_f32_dpp v125, v28, v125 row_newbcast:5 row_mask:0xf bank_mask:0xf// 0000000058B8: 0AFAFAFA FF01551C
	v_mul_f32_dpp v126, v28, v126 row_newbcast:6 row_mask:0xf bank_mask:0xf// 0000000058C0: 0AFCFCFA FF01561C
	v_mul_f32_dpp v127, v28, v127 row_newbcast:7 row_mask:0xf bank_mask:0xf// 0000000058C8: 0AFEFEFA FF01571C
	v_mul_f32_dpp v128, v28, v128 row_newbcast:4 row_mask:0xf bank_mask:0xf// 0000000058D0: 0B0100FA FF01541C
	v_mul_f32_dpp v129, v28, v129 row_newbcast:5 row_mask:0xf bank_mask:0xf// 0000000058D8: 0B0302FA FF01551C
	v_mul_f32_dpp v130, v28, v130 row_newbcast:6 row_mask:0xf bank_mask:0xf// 0000000058E0: 0B0504FA FF01561C
	v_mul_f32_dpp v131, v28, v131 row_newbcast:7 row_mask:0xf bank_mask:0xf// 0000000058E8: 0B0706FA FF01571C
	v_mul_f32_dpp v132, v28, v132 row_newbcast:8 row_mask:0xf bank_mask:0xf// 0000000058F0: 0B0908FA FF01581C
	v_mul_f32_dpp v133, v28, v133 row_newbcast:9 row_mask:0xf bank_mask:0xf// 0000000058F8: 0B0B0AFA FF01591C
	v_mul_f32_dpp v134, v28, v134 row_newbcast:10 row_mask:0xf bank_mask:0xf// 000000005900: 0B0D0CFA FF015A1C
	v_mul_f32_dpp v135, v28, v135 row_newbcast:11 row_mask:0xf bank_mask:0xf// 000000005908: 0B0F0EFA FF015B1C
	v_mul_f32_dpp v136, v28, v136 row_newbcast:8 row_mask:0xf bank_mask:0xf// 000000005910: 0B1110FA FF01581C
	v_mul_f32_dpp v137, v28, v137 row_newbcast:9 row_mask:0xf bank_mask:0xf// 000000005918: 0B1312FA FF01591C
	v_mul_f32_dpp v138, v28, v138 row_newbcast:10 row_mask:0xf bank_mask:0xf// 000000005920: 0B1514FA FF015A1C
	v_mul_f32_dpp v139, v28, v139 row_newbcast:11 row_mask:0xf bank_mask:0xf// 000000005928: 0B1716FA FF015B1C
	v_mul_f32_dpp v140, v28, v140 row_newbcast:12 row_mask:0xf bank_mask:0xf// 000000005930: 0B1918FA FF015C1C
	v_mul_f32_dpp v141, v28, v141 row_newbcast:13 row_mask:0xf bank_mask:0xf// 000000005938: 0B1B1AFA FF015D1C
	v_mul_f32_dpp v142, v28, v142 row_newbcast:14 row_mask:0xf bank_mask:0xf// 000000005940: 0B1D1CFA FF015E1C
	v_mul_f32_dpp v143, v28, v143 row_newbcast:15 row_mask:0xf bank_mask:0xf// 000000005948: 0B1F1EFA FF015F1C
	v_mul_f32_dpp v144, v28, v144 row_newbcast:12 row_mask:0xf bank_mask:0xf// 000000005950: 0B2120FA FF015C1C
	v_mul_f32_dpp v145, v28, v145 row_newbcast:13 row_mask:0xf bank_mask:0xf// 000000005958: 0B2322FA FF015D1C
	v_mul_f32_dpp v146, v28, v146 row_newbcast:14 row_mask:0xf bank_mask:0xf// 000000005960: 0B2524FA FF015E1C
	v_mul_f32_dpp v147, v28, v147 row_newbcast:15 row_mask:0xf bank_mask:0xf// 000000005968: 0B2726FA FF015F1C
	v_mul_f32_dpp v148, v29, v148 row_newbcast:0 row_mask:0xf bank_mask:0xf// 000000005970: 0B2928FA FF01501D
	v_mul_f32_dpp v149, v29, v149 row_newbcast:1 row_mask:0xf bank_mask:0xf// 000000005978: 0B2B2AFA FF01511D
	v_mul_f32_dpp v150, v29, v150 row_newbcast:2 row_mask:0xf bank_mask:0xf// 000000005980: 0B2D2CFA FF01521D
	v_mul_f32_dpp v151, v29, v151 row_newbcast:3 row_mask:0xf bank_mask:0xf// 000000005988: 0B2F2EFA FF01531D
	v_mul_f32_dpp v152, v29, v152 row_newbcast:0 row_mask:0xf bank_mask:0xf// 000000005990: 0B3130FA FF01501D
	v_mul_f32_dpp v153, v29, v153 row_newbcast:1 row_mask:0xf bank_mask:0xf// 000000005998: 0B3332FA FF01511D
	v_mul_f32_dpp v154, v29, v154 row_newbcast:2 row_mask:0xf bank_mask:0xf// 0000000059A0: 0B3534FA FF01521D
	v_mul_f32_dpp v155, v29, v155 row_newbcast:3 row_mask:0xf bank_mask:0xf// 0000000059A8: 0B3736FA FF01531D
	v_mul_f32_dpp v156, v29, v156 row_newbcast:4 row_mask:0xf bank_mask:0xf// 0000000059B0: 0B3938FA FF01541D
	v_mul_f32_dpp v157, v29, v157 row_newbcast:5 row_mask:0xf bank_mask:0xf// 0000000059B8: 0B3B3AFA FF01551D
	v_mul_f32_dpp v158, v29, v158 row_newbcast:6 row_mask:0xf bank_mask:0xf// 0000000059C0: 0B3D3CFA FF01561D
	v_mul_f32_dpp v159, v29, v159 row_newbcast:7 row_mask:0xf bank_mask:0xf// 0000000059C8: 0B3F3EFA FF01571D
	v_mul_f32_dpp v160, v29, v160 row_newbcast:4 row_mask:0xf bank_mask:0xf// 0000000059D0: 0B4140FA FF01541D
	v_mul_f32_dpp v161, v29, v161 row_newbcast:5 row_mask:0xf bank_mask:0xf// 0000000059D8: 0B4342FA FF01551D
	v_mul_f32_dpp v162, v29, v162 row_newbcast:6 row_mask:0xf bank_mask:0xf// 0000000059E0: 0B4544FA FF01561D
	v_mul_f32_dpp v163, v29, v163 row_newbcast:7 row_mask:0xf bank_mask:0xf// 0000000059E8: 0B4746FA FF01571D
	v_mul_f32_dpp v164, v29, v164 row_newbcast:8 row_mask:0xf bank_mask:0xf// 0000000059F0: 0B4948FA FF01581D
	v_mul_f32_dpp v165, v29, v165 row_newbcast:9 row_mask:0xf bank_mask:0xf// 0000000059F8: 0B4B4AFA FF01591D
	v_mul_f32_dpp v166, v29, v166 row_newbcast:10 row_mask:0xf bank_mask:0xf// 000000005A00: 0B4D4CFA FF015A1D
	v_mul_f32_dpp v167, v29, v167 row_newbcast:11 row_mask:0xf bank_mask:0xf// 000000005A08: 0B4F4EFA FF015B1D
	v_mul_f32_dpp v168, v29, v168 row_newbcast:8 row_mask:0xf bank_mask:0xf// 000000005A10: 0B5150FA FF01581D
	v_mul_f32_dpp v169, v29, v169 row_newbcast:9 row_mask:0xf bank_mask:0xf// 000000005A18: 0B5352FA FF01591D
	v_mul_f32_dpp v170, v29, v170 row_newbcast:10 row_mask:0xf bank_mask:0xf// 000000005A20: 0B5554FA FF015A1D
	v_mul_f32_dpp v171, v29, v171 row_newbcast:11 row_mask:0xf bank_mask:0xf// 000000005A28: 0B5756FA FF015B1D
	v_mul_f32_dpp v172, v29, v172 row_newbcast:12 row_mask:0xf bank_mask:0xf// 000000005A30: 0B5958FA FF015C1D
	v_mul_f32_dpp v173, v29, v173 row_newbcast:13 row_mask:0xf bank_mask:0xf// 000000005A38: 0B5B5AFA FF015D1D
	v_mul_f32_dpp v174, v29, v174 row_newbcast:14 row_mask:0xf bank_mask:0xf// 000000005A40: 0B5D5CFA FF015E1D
	v_mul_f32_dpp v175, v29, v175 row_newbcast:15 row_mask:0xf bank_mask:0xf// 000000005A48: 0B5F5EFA FF015F1D
	v_mul_f32_dpp v176, v29, v176 row_newbcast:12 row_mask:0xf bank_mask:0xf// 000000005A50: 0B6160FA FF015C1D
	v_mul_f32_dpp v177, v29, v177 row_newbcast:13 row_mask:0xf bank_mask:0xf// 000000005A58: 0B6362FA FF015D1D
	v_mul_f32_dpp v178, v29, v178 row_newbcast:14 row_mask:0xf bank_mask:0xf// 000000005A60: 0B6564FA FF015E1D
	v_mul_f32_dpp v179, v29, v179 row_newbcast:15 row_mask:0xf bank_mask:0xf// 000000005A68: 0B6766FA FF015F1D
	v_mul_f32_e32 v33, v33, v180                               // 000000005A70: 0A436921
	v_mov_b32_e32 v4, v33                                      // 000000005A74: 7E080321
	v_mov_b32_e32 v5, v4                                       // 000000005A78: 7E0A0304
	v_pk_mul_f32 v[52:53], v[4:5], v[52:53]                    // 000000005A7C: D3B14034 18026904
	v_pk_mul_f32 v[116:117], v[4:5], v[116:117]                // 000000005A84: D3B14074 1802E904
	v_pk_mul_f32 v[54:55], v[4:5], v[54:55]                    // 000000005A8C: D3B14036 18026D04
	v_pk_mul_f32 v[118:119], v[4:5], v[118:119]                // 000000005A94: D3B14076 1802ED04
	v_pk_mul_f32 v[60:61], v[4:5], v[60:61]                    // 000000005A9C: D3B1403C 18027904
	v_pk_mul_f32 v[124:125], v[4:5], v[124:125]                // 000000005AA4: D3B1407C 1802F904
	v_pk_mul_f32 v[62:63], v[4:5], v[62:63]                    // 000000005AAC: D3B1403E 18027D04
	v_pk_mul_f32 v[126:127], v[4:5], v[126:127]                // 000000005AB4: D3B1407E 1802FD04
	v_pk_mul_f32 v[68:69], v[4:5], v[68:69]                    // 000000005ABC: D3B14044 18028904
	v_pk_mul_f32 v[132:133], v[4:5], v[132:133]                // 000000005AC4: D3B14084 18030904
	v_pk_mul_f32 v[70:71], v[4:5], v[70:71]                    // 000000005ACC: D3B14046 18028D04
	v_pk_mul_f32 v[134:135], v[4:5], v[134:135]                // 000000005AD4: D3B14086 18030D04
	v_pk_mul_f32 v[76:77], v[4:5], v[76:77]                    // 000000005ADC: D3B1404C 18029904
	v_pk_mul_f32 v[140:141], v[4:5], v[140:141]                // 000000005AE4: D3B1408C 18031904
	v_pk_mul_f32 v[78:79], v[4:5], v[78:79]                    // 000000005AEC: D3B1404E 18029D04
	v_pk_mul_f32 v[142:143], v[4:5], v[142:143]                // 000000005AF4: D3B1408E 18031D04
	v_pk_mul_f32 v[84:85], v[4:5], v[84:85]                    // 000000005AFC: D3B14054 1802A904
	v_pk_mul_f32 v[148:149], v[4:5], v[148:149]                // 000000005B04: D3B14094 18032904
	v_pk_mul_f32 v[86:87], v[4:5], v[86:87]                    // 000000005B0C: D3B14056 1802AD04
	v_pk_mul_f32 v[150:151], v[4:5], v[150:151]                // 000000005B14: D3B14096 18032D04
	v_pk_mul_f32 v[92:93], v[4:5], v[92:93]                    // 000000005B1C: D3B1405C 1802B904
	v_pk_mul_f32 v[156:157], v[4:5], v[156:157]                // 000000005B24: D3B1409C 18033904
	v_pk_mul_f32 v[94:95], v[4:5], v[94:95]                    // 000000005B2C: D3B1405E 1802BD04
	v_pk_mul_f32 v[158:159], v[4:5], v[158:159]                // 000000005B34: D3B1409E 18033D04
	v_pk_mul_f32 v[100:101], v[4:5], v[100:101]                // 000000005B3C: D3B14064 1802C904
	v_pk_mul_f32 v[164:165], v[4:5], v[164:165]                // 000000005B44: D3B140A4 18034904
	v_pk_mul_f32 v[102:103], v[4:5], v[102:103]                // 000000005B4C: D3B14066 1802CD04
	v_pk_mul_f32 v[166:167], v[4:5], v[166:167]                // 000000005B54: D3B140A6 18034D04
	v_pk_mul_f32 v[108:109], v[4:5], v[108:109]                // 000000005B5C: D3B1406C 1802D904
	v_pk_mul_f32 v[172:173], v[4:5], v[172:173]                // 000000005B64: D3B140AC 18035904
	v_pk_mul_f32 v[110:111], v[4:5], v[110:111]                // 000000005B6C: D3B1406E 1802DD04
	v_pk_mul_f32 v[174:175], v[4:5], v[174:175]                // 000000005B74: D3B140AE 18035D04
	v_mul_f32_e32 v34, v34, v181                               // 000000005B7C: 0A456B22
	v_mov_b32_e32 v4, v34                                      // 000000005B80: 7E080322
	v_mov_b32_e32 v5, v4                                       // 000000005B84: 7E0A0304
	v_pk_mul_f32 v[56:57], v[4:5], v[56:57]                    // 000000005B88: D3B14038 18027104
	v_pk_mul_f32 v[120:121], v[4:5], v[120:121]                // 000000005B90: D3B14078 1802F104
	v_pk_mul_f32 v[58:59], v[4:5], v[58:59]                    // 000000005B98: D3B1403A 18027504
	v_pk_mul_f32 v[122:123], v[4:5], v[122:123]                // 000000005BA0: D3B1407A 1802F504
	v_pk_mul_f32 v[64:65], v[4:5], v[64:65]                    // 000000005BA8: D3B14040 18028104
	v_pk_mul_f32 v[128:129], v[4:5], v[128:129]                // 000000005BB0: D3B14080 18030104
	v_pk_mul_f32 v[66:67], v[4:5], v[66:67]                    // 000000005BB8: D3B14042 18028504
	v_pk_mul_f32 v[130:131], v[4:5], v[130:131]                // 000000005BC0: D3B14082 18030504
	v_pk_mul_f32 v[72:73], v[4:5], v[72:73]                    // 000000005BC8: D3B14048 18029104
	v_pk_mul_f32 v[136:137], v[4:5], v[136:137]                // 000000005BD0: D3B14088 18031104
	v_pk_mul_f32 v[74:75], v[4:5], v[74:75]                    // 000000005BD8: D3B1404A 18029504
	v_pk_mul_f32 v[138:139], v[4:5], v[138:139]                // 000000005BE0: D3B1408A 18031504
	v_pk_mul_f32 v[80:81], v[4:5], v[80:81]                    // 000000005BE8: D3B14050 1802A104
	v_pk_mul_f32 v[144:145], v[4:5], v[144:145]                // 000000005BF0: D3B14090 18032104
	v_pk_mul_f32 v[82:83], v[4:5], v[82:83]                    // 000000005BF8: D3B14052 1802A504
	v_pk_mul_f32 v[146:147], v[4:5], v[146:147]                // 000000005C00: D3B14092 18032504
	v_pk_mul_f32 v[88:89], v[4:5], v[88:89]                    // 000000005C08: D3B14058 1802B104
	v_pk_mul_f32 v[152:153], v[4:5], v[152:153]                // 000000005C10: D3B14098 18033104
	v_pk_mul_f32 v[90:91], v[4:5], v[90:91]                    // 000000005C18: D3B1405A 1802B504
	v_pk_mul_f32 v[154:155], v[4:5], v[154:155]                // 000000005C20: D3B1409A 18033504
	v_pk_mul_f32 v[96:97], v[4:5], v[96:97]                    // 000000005C28: D3B14060 1802C104
	v_pk_mul_f32 v[160:161], v[4:5], v[160:161]                // 000000005C30: D3B140A0 18034104
	v_pk_mul_f32 v[98:99], v[4:5], v[98:99]                    // 000000005C38: D3B14062 1802C504
	v_pk_mul_f32 v[162:163], v[4:5], v[162:163]                // 000000005C40: D3B140A2 18034504
	v_pk_mul_f32 v[104:105], v[4:5], v[104:105]                // 000000005C48: D3B14068 1802D104
	v_pk_mul_f32 v[168:169], v[4:5], v[168:169]                // 000000005C50: D3B140A8 18035104
	v_pk_mul_f32 v[106:107], v[4:5], v[106:107]                // 000000005C58: D3B1406A 1802D504
	v_pk_mul_f32 v[170:171], v[4:5], v[170:171]                // 000000005C60: D3B140AA 18035504
	v_pk_mul_f32 v[112:113], v[4:5], v[112:113]                // 000000005C68: D3B14070 1802E104
	v_pk_mul_f32 v[176:177], v[4:5], v[176:177]                // 000000005C70: D3B140B0 18036104
	v_pk_mul_f32 v[114:115], v[4:5], v[114:115]                // 000000005C78: D3B14072 1802E504
	v_pk_mul_f32 v[178:179], v[4:5], v[178:179]                // 000000005C80: D3B140B2 18036504
	s_cmp_eq_u32 s88, 0                                        // 000000005C88: BF068058
	s_cbranch_scc0 label_143D                                  // 000000005C8C: BF840799
	s_cmp_eq_u32 s89, 0                                        // 000000005C90: BF068059
	s_cbranch_scc1 label_0F2B                                  // 000000005C94: BF850285
	v_mov_b32_e32 v8, v1                                       // 000000005C98: 7E100301
	v_mov_b32_e32 v9, v1                                       // 000000005C9C: 7E120301
	s_mov_b32 s60, s6                                          // 000000005CA0: BEBC0006
	s_mov_b32 s61, s6                                          // 000000005CA4: BEBD0006
	v_pk_mul_f32 v[4:5], v[52:53], v[52:53]                    // 000000005CA8: D3B14004 18026934
	v_pk_mul_f32 v[6:7], v[54:55], v[54:55]                    // 000000005CB0: D3B14006 18026D36
	v_pk_fma_f32 v[4:5], v[4:5], s[78:79], v[8:9]              // 000000005CB8: D3B04004 1C209D04
	v_pk_fma_f32 v[6:7], v[6:7], s[78:79], v[8:9]              // 000000005CC0: D3B04006 1C209D06
	v_pk_mul_f32 v[4:5], v[4:5], v[52:53]                      // 000000005CC8: D3B14004 18026904
	v_pk_mul_f32 v[6:7], v[6:7], v[54:55]                      // 000000005CD0: D3B14006 18026D06
	v_pk_mul_f32 v[4:5], v[4:5], s[60:61]                      // 000000005CD8: D3B14004 18007904
	v_pk_mul_f32 v[6:7], v[6:7], s[60:61]                      // 000000005CE0: D3B14006 18007906
	v_exp_f32_e32 v4, v4                                       // 000000005CE8: 7E084104
	v_exp_f32_e32 v5, v5                                       // 000000005CEC: 7E0A4105
	v_exp_f32_e32 v6, v6                                       // 000000005CF0: 7E0C4106
	v_exp_f32_e32 v7, v7                                       // 000000005CF4: 7E0E4107
	v_add_f32_e64 v4, v4, 1.0                                  // 000000005CF8: D1010004 0001E504
	v_add_f32_e64 v5, v5, 1.0                                  // 000000005D00: D1010005 0001E505
	v_add_f32_e64 v6, v6, 1.0                                  // 000000005D08: D1010006 0001E506
	v_add_f32_e64 v7, v7, 1.0                                  // 000000005D10: D1010007 0001E507
	v_rcp_f32_e32 v4, v4                                       // 000000005D18: 7E084504
	v_rcp_f32_e32 v5, v5                                       // 000000005D1C: 7E0A4505
	v_rcp_f32_e32 v6, v6                                       // 000000005D20: 7E0C4506
	v_rcp_f32_e32 v7, v7                                       // 000000005D24: 7E0E4507
	v_mul_f32_e32 v52, v52, v4                                 // 000000005D28: 0A680934
	v_mul_f32_e32 v53, v53, v5                                 // 000000005D2C: 0A6A0B35
	v_mul_f32_e32 v54, v54, v6                                 // 000000005D30: 0A6C0D36
	v_mul_f32_e32 v55, v55, v7                                 // 000000005D34: 0A6E0F37
	v_mul_f32_e32 v52, v52, v116                               // 000000005D38: 0A68E934
	v_mul_f32_e32 v53, v53, v117                               // 000000005D3C: 0A6AEB35
	v_mul_f32_e32 v54, v54, v118                               // 000000005D40: 0A6CED36
	v_mul_f32_e32 v55, v55, v119                               // 000000005D44: 0A6EEF37
	v_pk_mul_f32 v[4:5], v[56:57], v[56:57]                    // 000000005D48: D3B14004 18027138
	v_pk_mul_f32 v[6:7], v[58:59], v[58:59]                    // 000000005D50: D3B14006 1802753A
	v_pk_fma_f32 v[4:5], v[4:5], s[78:79], v[8:9]              // 000000005D58: D3B04004 1C209D04
	v_pk_fma_f32 v[6:7], v[6:7], s[78:79], v[8:9]              // 000000005D60: D3B04006 1C209D06
	v_pk_mul_f32 v[4:5], v[4:5], v[56:57]                      // 000000005D68: D3B14004 18027104
	v_pk_mul_f32 v[6:7], v[6:7], v[58:59]                      // 000000005D70: D3B14006 18027506
	v_pk_mul_f32 v[4:5], v[4:5], s[60:61]                      // 000000005D78: D3B14004 18007904
	v_pk_mul_f32 v[6:7], v[6:7], s[60:61]                      // 000000005D80: D3B14006 18007906
	v_exp_f32_e32 v4, v4                                       // 000000005D88: 7E084104
	v_exp_f32_e32 v5, v5                                       // 000000005D8C: 7E0A4105
	v_exp_f32_e32 v6, v6                                       // 000000005D90: 7E0C4106
	v_exp_f32_e32 v7, v7                                       // 000000005D94: 7E0E4107
	v_add_f32_e64 v4, v4, 1.0                                  // 000000005D98: D1010004 0001E504
	v_add_f32_e64 v5, v5, 1.0                                  // 000000005DA0: D1010005 0001E505
	v_add_f32_e64 v6, v6, 1.0                                  // 000000005DA8: D1010006 0001E506
	v_add_f32_e64 v7, v7, 1.0                                  // 000000005DB0: D1010007 0001E507
	v_rcp_f32_e32 v4, v4                                       // 000000005DB8: 7E084504
	v_rcp_f32_e32 v5, v5                                       // 000000005DBC: 7E0A4505
	v_rcp_f32_e32 v6, v6                                       // 000000005DC0: 7E0C4506
	v_rcp_f32_e32 v7, v7                                       // 000000005DC4: 7E0E4507
	v_mul_f32_e32 v56, v56, v4                                 // 000000005DC8: 0A700938
	v_mul_f32_e32 v57, v57, v5                                 // 000000005DCC: 0A720B39
	v_mul_f32_e32 v58, v58, v6                                 // 000000005DD0: 0A740D3A
	v_mul_f32_e32 v59, v59, v7                                 // 000000005DD4: 0A760F3B
	v_mul_f32_e32 v56, v56, v120                               // 000000005DD8: 0A70F138
	v_mul_f32_e32 v57, v57, v121                               // 000000005DDC: 0A72F339
	v_mul_f32_e32 v58, v58, v122                               // 000000005DE0: 0A74F53A
	v_mul_f32_e32 v59, v59, v123                               // 000000005DE4: 0A76F73B
	v_pk_mul_f32 v[4:5], v[60:61], v[60:61]                    // 000000005DE8: D3B14004 1802793C
	v_pk_mul_f32 v[6:7], v[62:63], v[62:63]                    // 000000005DF0: D3B14006 18027D3E
	v_pk_fma_f32 v[4:5], v[4:5], s[78:79], v[8:9]              // 000000005DF8: D3B04004 1C209D04
	v_pk_fma_f32 v[6:7], v[6:7], s[78:79], v[8:9]              // 000000005E00: D3B04006 1C209D06
	v_pk_mul_f32 v[4:5], v[4:5], v[60:61]                      // 000000005E08: D3B14004 18027904
	v_pk_mul_f32 v[6:7], v[6:7], v[62:63]                      // 000000005E10: D3B14006 18027D06
	v_pk_mul_f32 v[4:5], v[4:5], s[60:61]                      // 000000005E18: D3B14004 18007904
	v_pk_mul_f32 v[6:7], v[6:7], s[60:61]                      // 000000005E20: D3B14006 18007906
	v_exp_f32_e32 v4, v4                                       // 000000005E28: 7E084104
	v_exp_f32_e32 v5, v5                                       // 000000005E2C: 7E0A4105
	v_exp_f32_e32 v6, v6                                       // 000000005E30: 7E0C4106
	v_exp_f32_e32 v7, v7                                       // 000000005E34: 7E0E4107
	v_add_f32_e64 v4, v4, 1.0                                  // 000000005E38: D1010004 0001E504
	v_add_f32_e64 v5, v5, 1.0                                  // 000000005E40: D1010005 0001E505
	v_add_f32_e64 v6, v6, 1.0                                  // 000000005E48: D1010006 0001E506
	v_add_f32_e64 v7, v7, 1.0                                  // 000000005E50: D1010007 0001E507
	v_rcp_f32_e32 v4, v4                                       // 000000005E58: 7E084504
	v_rcp_f32_e32 v5, v5                                       // 000000005E5C: 7E0A4505
	v_rcp_f32_e32 v6, v6                                       // 000000005E60: 7E0C4506
	v_rcp_f32_e32 v7, v7                                       // 000000005E64: 7E0E4507
	v_mul_f32_e32 v60, v60, v4                                 // 000000005E68: 0A78093C
	v_mul_f32_e32 v61, v61, v5                                 // 000000005E6C: 0A7A0B3D
	v_mul_f32_e32 v62, v62, v6                                 // 000000005E70: 0A7C0D3E
	v_mul_f32_e32 v63, v63, v7                                 // 000000005E74: 0A7E0F3F
	v_mul_f32_e32 v60, v60, v124                               // 000000005E78: 0A78F93C
	v_mul_f32_e32 v61, v61, v125                               // 000000005E7C: 0A7AFB3D
	v_mul_f32_e32 v62, v62, v126                               // 000000005E80: 0A7CFD3E
	v_mul_f32_e32 v63, v63, v127                               // 000000005E84: 0A7EFF3F
	v_pk_mul_f32 v[4:5], v[64:65], v[64:65]                    // 000000005E88: D3B14004 18028140
	v_pk_mul_f32 v[6:7], v[66:67], v[66:67]                    // 000000005E90: D3B14006 18028542
	v_pk_fma_f32 v[4:5], v[4:5], s[78:79], v[8:9]              // 000000005E98: D3B04004 1C209D04
	v_pk_fma_f32 v[6:7], v[6:7], s[78:79], v[8:9]              // 000000005EA0: D3B04006 1C209D06
	v_pk_mul_f32 v[4:5], v[4:5], v[64:65]                      // 000000005EA8: D3B14004 18028104
	v_pk_mul_f32 v[6:7], v[6:7], v[66:67]                      // 000000005EB0: D3B14006 18028506
	v_pk_mul_f32 v[4:5], v[4:5], s[60:61]                      // 000000005EB8: D3B14004 18007904
	v_pk_mul_f32 v[6:7], v[6:7], s[60:61]                      // 000000005EC0: D3B14006 18007906
	v_exp_f32_e32 v4, v4                                       // 000000005EC8: 7E084104
	v_exp_f32_e32 v5, v5                                       // 000000005ECC: 7E0A4105
	v_exp_f32_e32 v6, v6                                       // 000000005ED0: 7E0C4106
	v_exp_f32_e32 v7, v7                                       // 000000005ED4: 7E0E4107
	v_add_f32_e64 v4, v4, 1.0                                  // 000000005ED8: D1010004 0001E504
	v_add_f32_e64 v5, v5, 1.0                                  // 000000005EE0: D1010005 0001E505
	v_add_f32_e64 v6, v6, 1.0                                  // 000000005EE8: D1010006 0001E506
	v_add_f32_e64 v7, v7, 1.0                                  // 000000005EF0: D1010007 0001E507
	v_rcp_f32_e32 v4, v4                                       // 000000005EF8: 7E084504
	v_rcp_f32_e32 v5, v5                                       // 000000005EFC: 7E0A4505
	v_rcp_f32_e32 v6, v6                                       // 000000005F00: 7E0C4506
	v_rcp_f32_e32 v7, v7                                       // 000000005F04: 7E0E4507
	v_mul_f32_e32 v64, v64, v4                                 // 000000005F08: 0A800940
	v_mul_f32_e32 v65, v65, v5                                 // 000000005F0C: 0A820B41
	v_mul_f32_e32 v66, v66, v6                                 // 000000005F10: 0A840D42
	v_mul_f32_e32 v67, v67, v7                                 // 000000005F14: 0A860F43
	v_mul_f32_e32 v64, v64, v128                               // 000000005F18: 0A810140
	v_mul_f32_e32 v65, v65, v129                               // 000000005F1C: 0A830341
	v_mul_f32_e32 v66, v66, v130                               // 000000005F20: 0A850542
	v_mul_f32_e32 v67, v67, v131                               // 000000005F24: 0A870743
	v_pk_mul_f32 v[4:5], v[68:69], v[68:69]                    // 000000005F28: D3B14004 18028944
	v_pk_mul_f32 v[6:7], v[70:71], v[70:71]                    // 000000005F30: D3B14006 18028D46
	v_pk_fma_f32 v[4:5], v[4:5], s[78:79], v[8:9]              // 000000005F38: D3B04004 1C209D04
	v_pk_fma_f32 v[6:7], v[6:7], s[78:79], v[8:9]              // 000000005F40: D3B04006 1C209D06
	v_pk_mul_f32 v[4:5], v[4:5], v[68:69]                      // 000000005F48: D3B14004 18028904
	v_pk_mul_f32 v[6:7], v[6:7], v[70:71]                      // 000000005F50: D3B14006 18028D06
	v_pk_mul_f32 v[4:5], v[4:5], s[60:61]                      // 000000005F58: D3B14004 18007904
	v_pk_mul_f32 v[6:7], v[6:7], s[60:61]                      // 000000005F60: D3B14006 18007906
	v_exp_f32_e32 v4, v4                                       // 000000005F68: 7E084104
	v_exp_f32_e32 v5, v5                                       // 000000005F6C: 7E0A4105
	v_exp_f32_e32 v6, v6                                       // 000000005F70: 7E0C4106
	v_exp_f32_e32 v7, v7                                       // 000000005F74: 7E0E4107
	v_add_f32_e64 v4, v4, 1.0                                  // 000000005F78: D1010004 0001E504
	v_add_f32_e64 v5, v5, 1.0                                  // 000000005F80: D1010005 0001E505
	v_add_f32_e64 v6, v6, 1.0                                  // 000000005F88: D1010006 0001E506
	v_add_f32_e64 v7, v7, 1.0                                  // 000000005F90: D1010007 0001E507
	v_rcp_f32_e32 v4, v4                                       // 000000005F98: 7E084504
	v_rcp_f32_e32 v5, v5                                       // 000000005F9C: 7E0A4505
	v_rcp_f32_e32 v6, v6                                       // 000000005FA0: 7E0C4506
	v_rcp_f32_e32 v7, v7                                       // 000000005FA4: 7E0E4507
	v_mul_f32_e32 v68, v68, v4                                 // 000000005FA8: 0A880944
	v_mul_f32_e32 v69, v69, v5                                 // 000000005FAC: 0A8A0B45
	v_mul_f32_e32 v70, v70, v6                                 // 000000005FB0: 0A8C0D46
	v_mul_f32_e32 v71, v71, v7                                 // 000000005FB4: 0A8E0F47
	v_mul_f32_e32 v68, v68, v132                               // 000000005FB8: 0A890944
	v_mul_f32_e32 v69, v69, v133                               // 000000005FBC: 0A8B0B45
	v_mul_f32_e32 v70, v70, v134                               // 000000005FC0: 0A8D0D46
	v_mul_f32_e32 v71, v71, v135                               // 000000005FC4: 0A8F0F47
	v_pk_mul_f32 v[4:5], v[72:73], v[72:73]                    // 000000005FC8: D3B14004 18029148
	v_pk_mul_f32 v[6:7], v[74:75], v[74:75]                    // 000000005FD0: D3B14006 1802954A
	v_pk_fma_f32 v[4:5], v[4:5], s[78:79], v[8:9]              // 000000005FD8: D3B04004 1C209D04
	v_pk_fma_f32 v[6:7], v[6:7], s[78:79], v[8:9]              // 000000005FE0: D3B04006 1C209D06
	v_pk_mul_f32 v[4:5], v[4:5], v[72:73]                      // 000000005FE8: D3B14004 18029104
	v_pk_mul_f32 v[6:7], v[6:7], v[74:75]                      // 000000005FF0: D3B14006 18029506
	v_pk_mul_f32 v[4:5], v[4:5], s[60:61]                      // 000000005FF8: D3B14004 18007904
	v_pk_mul_f32 v[6:7], v[6:7], s[60:61]                      // 000000006000: D3B14006 18007906
	v_exp_f32_e32 v4, v4                                       // 000000006008: 7E084104
	v_exp_f32_e32 v5, v5                                       // 00000000600C: 7E0A4105
	v_exp_f32_e32 v6, v6                                       // 000000006010: 7E0C4106
	v_exp_f32_e32 v7, v7                                       // 000000006014: 7E0E4107
	v_add_f32_e64 v4, v4, 1.0                                  // 000000006018: D1010004 0001E504
	v_add_f32_e64 v5, v5, 1.0                                  // 000000006020: D1010005 0001E505
	v_add_f32_e64 v6, v6, 1.0                                  // 000000006028: D1010006 0001E506
	v_add_f32_e64 v7, v7, 1.0                                  // 000000006030: D1010007 0001E507
	v_rcp_f32_e32 v4, v4                                       // 000000006038: 7E084504
	v_rcp_f32_e32 v5, v5                                       // 00000000603C: 7E0A4505
	v_rcp_f32_e32 v6, v6                                       // 000000006040: 7E0C4506
	v_rcp_f32_e32 v7, v7                                       // 000000006044: 7E0E4507
	v_mul_f32_e32 v72, v72, v4                                 // 000000006048: 0A900948
	v_mul_f32_e32 v73, v73, v5                                 // 00000000604C: 0A920B49
	v_mul_f32_e32 v74, v74, v6                                 // 000000006050: 0A940D4A
	v_mul_f32_e32 v75, v75, v7                                 // 000000006054: 0A960F4B
	v_mul_f32_e32 v72, v72, v136                               // 000000006058: 0A911148
	v_mul_f32_e32 v73, v73, v137                               // 00000000605C: 0A931349
	v_mul_f32_e32 v74, v74, v138                               // 000000006060: 0A95154A
	v_mul_f32_e32 v75, v75, v139                               // 000000006064: 0A97174B
	v_pk_mul_f32 v[4:5], v[76:77], v[76:77]                    // 000000006068: D3B14004 1802994C
	v_pk_mul_f32 v[6:7], v[78:79], v[78:79]                    // 000000006070: D3B14006 18029D4E
	v_pk_fma_f32 v[4:5], v[4:5], s[78:79], v[8:9]              // 000000006078: D3B04004 1C209D04
	v_pk_fma_f32 v[6:7], v[6:7], s[78:79], v[8:9]              // 000000006080: D3B04006 1C209D06
	v_pk_mul_f32 v[4:5], v[4:5], v[76:77]                      // 000000006088: D3B14004 18029904
	v_pk_mul_f32 v[6:7], v[6:7], v[78:79]                      // 000000006090: D3B14006 18029D06
	v_pk_mul_f32 v[4:5], v[4:5], s[60:61]                      // 000000006098: D3B14004 18007904
	v_pk_mul_f32 v[6:7], v[6:7], s[60:61]                      // 0000000060A0: D3B14006 18007906
	v_exp_f32_e32 v4, v4                                       // 0000000060A8: 7E084104
	v_exp_f32_e32 v5, v5                                       // 0000000060AC: 7E0A4105
	v_exp_f32_e32 v6, v6                                       // 0000000060B0: 7E0C4106
	v_exp_f32_e32 v7, v7                                       // 0000000060B4: 7E0E4107
	v_add_f32_e64 v4, v4, 1.0                                  // 0000000060B8: D1010004 0001E504
	v_add_f32_e64 v5, v5, 1.0                                  // 0000000060C0: D1010005 0001E505
	v_add_f32_e64 v6, v6, 1.0                                  // 0000000060C8: D1010006 0001E506
	v_add_f32_e64 v7, v7, 1.0                                  // 0000000060D0: D1010007 0001E507
	v_rcp_f32_e32 v4, v4                                       // 0000000060D8: 7E084504
	v_rcp_f32_e32 v5, v5                                       // 0000000060DC: 7E0A4505
	v_rcp_f32_e32 v6, v6                                       // 0000000060E0: 7E0C4506
	v_rcp_f32_e32 v7, v7                                       // 0000000060E4: 7E0E4507
	v_mul_f32_e32 v76, v76, v4                                 // 0000000060E8: 0A98094C
	v_mul_f32_e32 v77, v77, v5                                 // 0000000060EC: 0A9A0B4D
	v_mul_f32_e32 v78, v78, v6                                 // 0000000060F0: 0A9C0D4E
	v_mul_f32_e32 v79, v79, v7                                 // 0000000060F4: 0A9E0F4F
	v_mul_f32_e32 v76, v76, v140                               // 0000000060F8: 0A99194C
	v_mul_f32_e32 v77, v77, v141                               // 0000000060FC: 0A9B1B4D
	v_mul_f32_e32 v78, v78, v142                               // 000000006100: 0A9D1D4E
	v_mul_f32_e32 v79, v79, v143                               // 000000006104: 0A9F1F4F
	v_pk_mul_f32 v[4:5], v[80:81], v[80:81]                    // 000000006108: D3B14004 1802A150
	v_pk_mul_f32 v[6:7], v[82:83], v[82:83]                    // 000000006110: D3B14006 1802A552
	v_pk_fma_f32 v[4:5], v[4:5], s[78:79], v[8:9]              // 000000006118: D3B04004 1C209D04
	v_pk_fma_f32 v[6:7], v[6:7], s[78:79], v[8:9]              // 000000006120: D3B04006 1C209D06
	v_pk_mul_f32 v[4:5], v[4:5], v[80:81]                      // 000000006128: D3B14004 1802A104
	v_pk_mul_f32 v[6:7], v[6:7], v[82:83]                      // 000000006130: D3B14006 1802A506
	v_pk_mul_f32 v[4:5], v[4:5], s[60:61]                      // 000000006138: D3B14004 18007904
	v_pk_mul_f32 v[6:7], v[6:7], s[60:61]                      // 000000006140: D3B14006 18007906
	v_exp_f32_e32 v4, v4                                       // 000000006148: 7E084104
	v_exp_f32_e32 v5, v5                                       // 00000000614C: 7E0A4105
	v_exp_f32_e32 v6, v6                                       // 000000006150: 7E0C4106
	v_exp_f32_e32 v7, v7                                       // 000000006154: 7E0E4107
	v_add_f32_e64 v4, v4, 1.0                                  // 000000006158: D1010004 0001E504
	v_add_f32_e64 v5, v5, 1.0                                  // 000000006160: D1010005 0001E505
	v_add_f32_e64 v6, v6, 1.0                                  // 000000006168: D1010006 0001E506
	v_add_f32_e64 v7, v7, 1.0                                  // 000000006170: D1010007 0001E507
	v_rcp_f32_e32 v4, v4                                       // 000000006178: 7E084504
	v_rcp_f32_e32 v5, v5                                       // 00000000617C: 7E0A4505
	v_rcp_f32_e32 v6, v6                                       // 000000006180: 7E0C4506
	v_rcp_f32_e32 v7, v7                                       // 000000006184: 7E0E4507
	v_mul_f32_e32 v80, v80, v4                                 // 000000006188: 0AA00950
	v_mul_f32_e32 v81, v81, v5                                 // 00000000618C: 0AA20B51
	v_mul_f32_e32 v82, v82, v6                                 // 000000006190: 0AA40D52
	v_mul_f32_e32 v83, v83, v7                                 // 000000006194: 0AA60F53
	v_mul_f32_e32 v80, v80, v144                               // 000000006198: 0AA12150
	v_mul_f32_e32 v81, v81, v145                               // 00000000619C: 0AA32351
	v_mul_f32_e32 v82, v82, v146                               // 0000000061A0: 0AA52552
	v_mul_f32_e32 v83, v83, v147                               // 0000000061A4: 0AA72753
	v_pk_mul_f32 v[4:5], v[84:85], v[84:85]                    // 0000000061A8: D3B14004 1802A954
	v_pk_mul_f32 v[6:7], v[86:87], v[86:87]                    // 0000000061B0: D3B14006 1802AD56
	v_pk_fma_f32 v[4:5], v[4:5], s[78:79], v[8:9]              // 0000000061B8: D3B04004 1C209D04
	v_pk_fma_f32 v[6:7], v[6:7], s[78:79], v[8:9]              // 0000000061C0: D3B04006 1C209D06
	v_pk_mul_f32 v[4:5], v[4:5], v[84:85]                      // 0000000061C8: D3B14004 1802A904
	v_pk_mul_f32 v[6:7], v[6:7], v[86:87]                      // 0000000061D0: D3B14006 1802AD06
	v_pk_mul_f32 v[4:5], v[4:5], s[60:61]                      // 0000000061D8: D3B14004 18007904
	v_pk_mul_f32 v[6:7], v[6:7], s[60:61]                      // 0000000061E0: D3B14006 18007906
	v_exp_f32_e32 v4, v4                                       // 0000000061E8: 7E084104
	v_exp_f32_e32 v5, v5                                       // 0000000061EC: 7E0A4105
	v_exp_f32_e32 v6, v6                                       // 0000000061F0: 7E0C4106
	v_exp_f32_e32 v7, v7                                       // 0000000061F4: 7E0E4107
	v_add_f32_e64 v4, v4, 1.0                                  // 0000000061F8: D1010004 0001E504
	v_add_f32_e64 v5, v5, 1.0                                  // 000000006200: D1010005 0001E505
	v_add_f32_e64 v6, v6, 1.0                                  // 000000006208: D1010006 0001E506
	v_add_f32_e64 v7, v7, 1.0                                  // 000000006210: D1010007 0001E507
	v_rcp_f32_e32 v4, v4                                       // 000000006218: 7E084504
	v_rcp_f32_e32 v5, v5                                       // 00000000621C: 7E0A4505
	v_rcp_f32_e32 v6, v6                                       // 000000006220: 7E0C4506
	v_rcp_f32_e32 v7, v7                                       // 000000006224: 7E0E4507
	v_mul_f32_e32 v84, v84, v4                                 // 000000006228: 0AA80954
	v_mul_f32_e32 v85, v85, v5                                 // 00000000622C: 0AAA0B55
	v_mul_f32_e32 v86, v86, v6                                 // 000000006230: 0AAC0D56
	v_mul_f32_e32 v87, v87, v7                                 // 000000006234: 0AAE0F57
	v_mul_f32_e32 v84, v84, v148                               // 000000006238: 0AA92954
	v_mul_f32_e32 v85, v85, v149                               // 00000000623C: 0AAB2B55
	v_mul_f32_e32 v86, v86, v150                               // 000000006240: 0AAD2D56
	v_mul_f32_e32 v87, v87, v151                               // 000000006244: 0AAF2F57
	v_pk_mul_f32 v[4:5], v[88:89], v[88:89]                    // 000000006248: D3B14004 1802B158
	v_pk_mul_f32 v[6:7], v[90:91], v[90:91]                    // 000000006250: D3B14006 1802B55A
	v_pk_fma_f32 v[4:5], v[4:5], s[78:79], v[8:9]              // 000000006258: D3B04004 1C209D04
	v_pk_fma_f32 v[6:7], v[6:7], s[78:79], v[8:9]              // 000000006260: D3B04006 1C209D06
	v_pk_mul_f32 v[4:5], v[4:5], v[88:89]                      // 000000006268: D3B14004 1802B104
	v_pk_mul_f32 v[6:7], v[6:7], v[90:91]                      // 000000006270: D3B14006 1802B506
	v_pk_mul_f32 v[4:5], v[4:5], s[60:61]                      // 000000006278: D3B14004 18007904
	v_pk_mul_f32 v[6:7], v[6:7], s[60:61]                      // 000000006280: D3B14006 18007906
	v_exp_f32_e32 v4, v4                                       // 000000006288: 7E084104
	v_exp_f32_e32 v5, v5                                       // 00000000628C: 7E0A4105
	v_exp_f32_e32 v6, v6                                       // 000000006290: 7E0C4106
	v_exp_f32_e32 v7, v7                                       // 000000006294: 7E0E4107
	v_add_f32_e64 v4, v4, 1.0                                  // 000000006298: D1010004 0001E504
	v_add_f32_e64 v5, v5, 1.0                                  // 0000000062A0: D1010005 0001E505
	v_add_f32_e64 v6, v6, 1.0                                  // 0000000062A8: D1010006 0001E506
	v_add_f32_e64 v7, v7, 1.0                                  // 0000000062B0: D1010007 0001E507
	v_rcp_f32_e32 v4, v4                                       // 0000000062B8: 7E084504
	v_rcp_f32_e32 v5, v5                                       // 0000000062BC: 7E0A4505
	v_rcp_f32_e32 v6, v6                                       // 0000000062C0: 7E0C4506
	v_rcp_f32_e32 v7, v7                                       // 0000000062C4: 7E0E4507
	v_mul_f32_e32 v88, v88, v4                                 // 0000000062C8: 0AB00958
	v_mul_f32_e32 v89, v89, v5                                 // 0000000062CC: 0AB20B59
	v_mul_f32_e32 v90, v90, v6                                 // 0000000062D0: 0AB40D5A
	v_mul_f32_e32 v91, v91, v7                                 // 0000000062D4: 0AB60F5B
	v_mul_f32_e32 v88, v88, v152                               // 0000000062D8: 0AB13158
	v_mul_f32_e32 v89, v89, v153                               // 0000000062DC: 0AB33359
	v_mul_f32_e32 v90, v90, v154                               // 0000000062E0: 0AB5355A
	v_mul_f32_e32 v91, v91, v155                               // 0000000062E4: 0AB7375B
	v_pk_mul_f32 v[4:5], v[92:93], v[92:93]                    // 0000000062E8: D3B14004 1802B95C
	v_pk_mul_f32 v[6:7], v[94:95], v[94:95]                    // 0000000062F0: D3B14006 1802BD5E
	v_pk_fma_f32 v[4:5], v[4:5], s[78:79], v[8:9]              // 0000000062F8: D3B04004 1C209D04
	v_pk_fma_f32 v[6:7], v[6:7], s[78:79], v[8:9]              // 000000006300: D3B04006 1C209D06
	v_pk_mul_f32 v[4:5], v[4:5], v[92:93]                      // 000000006308: D3B14004 1802B904
	v_pk_mul_f32 v[6:7], v[6:7], v[94:95]                      // 000000006310: D3B14006 1802BD06
	v_pk_mul_f32 v[4:5], v[4:5], s[60:61]                      // 000000006318: D3B14004 18007904
	v_pk_mul_f32 v[6:7], v[6:7], s[60:61]                      // 000000006320: D3B14006 18007906
	v_exp_f32_e32 v4, v4                                       // 000000006328: 7E084104
	v_exp_f32_e32 v5, v5                                       // 00000000632C: 7E0A4105
	v_exp_f32_e32 v6, v6                                       // 000000006330: 7E0C4106
	v_exp_f32_e32 v7, v7                                       // 000000006334: 7E0E4107
	v_add_f32_e64 v4, v4, 1.0                                  // 000000006338: D1010004 0001E504
	v_add_f32_e64 v5, v5, 1.0                                  // 000000006340: D1010005 0001E505
	v_add_f32_e64 v6, v6, 1.0                                  // 000000006348: D1010006 0001E506
	v_add_f32_e64 v7, v7, 1.0                                  // 000000006350: D1010007 0001E507
	v_rcp_f32_e32 v4, v4                                       // 000000006358: 7E084504
	v_rcp_f32_e32 v5, v5                                       // 00000000635C: 7E0A4505
	v_rcp_f32_e32 v6, v6                                       // 000000006360: 7E0C4506
	v_rcp_f32_e32 v7, v7                                       // 000000006364: 7E0E4507
	v_mul_f32_e32 v92, v92, v4                                 // 000000006368: 0AB8095C
	v_mul_f32_e32 v93, v93, v5                                 // 00000000636C: 0ABA0B5D
	v_mul_f32_e32 v94, v94, v6                                 // 000000006370: 0ABC0D5E
	v_mul_f32_e32 v95, v95, v7                                 // 000000006374: 0ABE0F5F
	v_mul_f32_e32 v92, v92, v156                               // 000000006378: 0AB9395C
	v_mul_f32_e32 v93, v93, v157                               // 00000000637C: 0ABB3B5D
	v_mul_f32_e32 v94, v94, v158                               // 000000006380: 0ABD3D5E
	v_mul_f32_e32 v95, v95, v159                               // 000000006384: 0ABF3F5F
	v_pk_mul_f32 v[4:5], v[96:97], v[96:97]                    // 000000006388: D3B14004 1802C160
	v_pk_mul_f32 v[6:7], v[98:99], v[98:99]                    // 000000006390: D3B14006 1802C562
	v_pk_fma_f32 v[4:5], v[4:5], s[78:79], v[8:9]              // 000000006398: D3B04004 1C209D04
	v_pk_fma_f32 v[6:7], v[6:7], s[78:79], v[8:9]              // 0000000063A0: D3B04006 1C209D06
	v_pk_mul_f32 v[4:5], v[4:5], v[96:97]                      // 0000000063A8: D3B14004 1802C104
	v_pk_mul_f32 v[6:7], v[6:7], v[98:99]                      // 0000000063B0: D3B14006 1802C506
	v_pk_mul_f32 v[4:5], v[4:5], s[60:61]                      // 0000000063B8: D3B14004 18007904
	v_pk_mul_f32 v[6:7], v[6:7], s[60:61]                      // 0000000063C0: D3B14006 18007906
	v_exp_f32_e32 v4, v4                                       // 0000000063C8: 7E084104
	v_exp_f32_e32 v5, v5                                       // 0000000063CC: 7E0A4105
	v_exp_f32_e32 v6, v6                                       // 0000000063D0: 7E0C4106
	v_exp_f32_e32 v7, v7                                       // 0000000063D4: 7E0E4107
	v_add_f32_e64 v4, v4, 1.0                                  // 0000000063D8: D1010004 0001E504
	v_add_f32_e64 v5, v5, 1.0                                  // 0000000063E0: D1010005 0001E505
	v_add_f32_e64 v6, v6, 1.0                                  // 0000000063E8: D1010006 0001E506
	v_add_f32_e64 v7, v7, 1.0                                  // 0000000063F0: D1010007 0001E507
	v_rcp_f32_e32 v4, v4                                       // 0000000063F8: 7E084504
	v_rcp_f32_e32 v5, v5                                       // 0000000063FC: 7E0A4505
	v_rcp_f32_e32 v6, v6                                       // 000000006400: 7E0C4506
	v_rcp_f32_e32 v7, v7                                       // 000000006404: 7E0E4507
	v_mul_f32_e32 v96, v96, v4                                 // 000000006408: 0AC00960
	v_mul_f32_e32 v97, v97, v5                                 // 00000000640C: 0AC20B61
	v_mul_f32_e32 v98, v98, v6                                 // 000000006410: 0AC40D62
	v_mul_f32_e32 v99, v99, v7                                 // 000000006414: 0AC60F63
	v_mul_f32_e32 v96, v96, v160                               // 000000006418: 0AC14160
	v_mul_f32_e32 v97, v97, v161                               // 00000000641C: 0AC34361
	v_mul_f32_e32 v98, v98, v162                               // 000000006420: 0AC54562
	v_mul_f32_e32 v99, v99, v163                               // 000000006424: 0AC74763
	v_pk_mul_f32 v[4:5], v[100:101], v[100:101]                // 000000006428: D3B14004 1802C964
	v_pk_mul_f32 v[6:7], v[102:103], v[102:103]                // 000000006430: D3B14006 1802CD66
	v_pk_fma_f32 v[4:5], v[4:5], s[78:79], v[8:9]              // 000000006438: D3B04004 1C209D04
	v_pk_fma_f32 v[6:7], v[6:7], s[78:79], v[8:9]              // 000000006440: D3B04006 1C209D06
	v_pk_mul_f32 v[4:5], v[4:5], v[100:101]                    // 000000006448: D3B14004 1802C904
	v_pk_mul_f32 v[6:7], v[6:7], v[102:103]                    // 000000006450: D3B14006 1802CD06
	v_pk_mul_f32 v[4:5], v[4:5], s[60:61]                      // 000000006458: D3B14004 18007904
	v_pk_mul_f32 v[6:7], v[6:7], s[60:61]                      // 000000006460: D3B14006 18007906
	v_exp_f32_e32 v4, v4                                       // 000000006468: 7E084104
	v_exp_f32_e32 v5, v5                                       // 00000000646C: 7E0A4105
	v_exp_f32_e32 v6, v6                                       // 000000006470: 7E0C4106
	v_exp_f32_e32 v7, v7                                       // 000000006474: 7E0E4107
	v_add_f32_e64 v4, v4, 1.0                                  // 000000006478: D1010004 0001E504
	v_add_f32_e64 v5, v5, 1.0                                  // 000000006480: D1010005 0001E505
	v_add_f32_e64 v6, v6, 1.0                                  // 000000006488: D1010006 0001E506
	v_add_f32_e64 v7, v7, 1.0                                  // 000000006490: D1010007 0001E507
	v_rcp_f32_e32 v4, v4                                       // 000000006498: 7E084504
	v_rcp_f32_e32 v5, v5                                       // 00000000649C: 7E0A4505
	v_rcp_f32_e32 v6, v6                                       // 0000000064A0: 7E0C4506
	v_rcp_f32_e32 v7, v7                                       // 0000000064A4: 7E0E4507
	v_mul_f32_e32 v100, v100, v4                               // 0000000064A8: 0AC80964
	v_mul_f32_e32 v101, v101, v5                               // 0000000064AC: 0ACA0B65
	v_mul_f32_e32 v102, v102, v6                               // 0000000064B0: 0ACC0D66
	v_mul_f32_e32 v103, v103, v7                               // 0000000064B4: 0ACE0F67
	v_mul_f32_e32 v100, v100, v164                             // 0000000064B8: 0AC94964
	v_mul_f32_e32 v101, v101, v165                             // 0000000064BC: 0ACB4B65
	v_mul_f32_e32 v102, v102, v166                             // 0000000064C0: 0ACD4D66
	v_mul_f32_e32 v103, v103, v167                             // 0000000064C4: 0ACF4F67
	v_pk_mul_f32 v[4:5], v[104:105], v[104:105]                // 0000000064C8: D3B14004 1802D168
	v_pk_mul_f32 v[6:7], v[106:107], v[106:107]                // 0000000064D0: D3B14006 1802D56A
	v_pk_fma_f32 v[4:5], v[4:5], s[78:79], v[8:9]              // 0000000064D8: D3B04004 1C209D04
	v_pk_fma_f32 v[6:7], v[6:7], s[78:79], v[8:9]              // 0000000064E0: D3B04006 1C209D06
	v_pk_mul_f32 v[4:5], v[4:5], v[104:105]                    // 0000000064E8: D3B14004 1802D104
	v_pk_mul_f32 v[6:7], v[6:7], v[106:107]                    // 0000000064F0: D3B14006 1802D506
	v_pk_mul_f32 v[4:5], v[4:5], s[60:61]                      // 0000000064F8: D3B14004 18007904
	v_pk_mul_f32 v[6:7], v[6:7], s[60:61]                      // 000000006500: D3B14006 18007906
	v_exp_f32_e32 v4, v4                                       // 000000006508: 7E084104
	v_exp_f32_e32 v5, v5                                       // 00000000650C: 7E0A4105
	v_exp_f32_e32 v6, v6                                       // 000000006510: 7E0C4106
	v_exp_f32_e32 v7, v7                                       // 000000006514: 7E0E4107
	v_add_f32_e64 v4, v4, 1.0                                  // 000000006518: D1010004 0001E504
	v_add_f32_e64 v5, v5, 1.0                                  // 000000006520: D1010005 0001E505
	v_add_f32_e64 v6, v6, 1.0                                  // 000000006528: D1010006 0001E506
	v_add_f32_e64 v7, v7, 1.0                                  // 000000006530: D1010007 0001E507
	v_rcp_f32_e32 v4, v4                                       // 000000006538: 7E084504
	v_rcp_f32_e32 v5, v5                                       // 00000000653C: 7E0A4505
	v_rcp_f32_e32 v6, v6                                       // 000000006540: 7E0C4506
	v_rcp_f32_e32 v7, v7                                       // 000000006544: 7E0E4507
	v_mul_f32_e32 v104, v104, v4                               // 000000006548: 0AD00968
	v_mul_f32_e32 v105, v105, v5                               // 00000000654C: 0AD20B69
	v_mul_f32_e32 v106, v106, v6                               // 000000006550: 0AD40D6A
	v_mul_f32_e32 v107, v107, v7                               // 000000006554: 0AD60F6B
	v_mul_f32_e32 v104, v104, v168                             // 000000006558: 0AD15168
	v_mul_f32_e32 v105, v105, v169                             // 00000000655C: 0AD35369
	v_mul_f32_e32 v106, v106, v170                             // 000000006560: 0AD5556A
	v_mul_f32_e32 v107, v107, v171                             // 000000006564: 0AD7576B
	v_pk_mul_f32 v[4:5], v[108:109], v[108:109]                // 000000006568: D3B14004 1802D96C
	v_pk_mul_f32 v[6:7], v[110:111], v[110:111]                // 000000006570: D3B14006 1802DD6E
	v_pk_fma_f32 v[4:5], v[4:5], s[78:79], v[8:9]              // 000000006578: D3B04004 1C209D04
	v_pk_fma_f32 v[6:7], v[6:7], s[78:79], v[8:9]              // 000000006580: D3B04006 1C209D06
	v_pk_mul_f32 v[4:5], v[4:5], v[108:109]                    // 000000006588: D3B14004 1802D904
	v_pk_mul_f32 v[6:7], v[6:7], v[110:111]                    // 000000006590: D3B14006 1802DD06
	v_pk_mul_f32 v[4:5], v[4:5], s[60:61]                      // 000000006598: D3B14004 18007904
	v_pk_mul_f32 v[6:7], v[6:7], s[60:61]                      // 0000000065A0: D3B14006 18007906
	v_exp_f32_e32 v4, v4                                       // 0000000065A8: 7E084104
	v_exp_f32_e32 v5, v5                                       // 0000000065AC: 7E0A4105
	v_exp_f32_e32 v6, v6                                       // 0000000065B0: 7E0C4106
	v_exp_f32_e32 v7, v7                                       // 0000000065B4: 7E0E4107
	v_add_f32_e64 v4, v4, 1.0                                  // 0000000065B8: D1010004 0001E504
	v_add_f32_e64 v5, v5, 1.0                                  // 0000000065C0: D1010005 0001E505
	v_add_f32_e64 v6, v6, 1.0                                  // 0000000065C8: D1010006 0001E506
	v_add_f32_e64 v7, v7, 1.0                                  // 0000000065D0: D1010007 0001E507
	v_rcp_f32_e32 v4, v4                                       // 0000000065D8: 7E084504
	v_rcp_f32_e32 v5, v5                                       // 0000000065DC: 7E0A4505
	v_rcp_f32_e32 v6, v6                                       // 0000000065E0: 7E0C4506
	v_rcp_f32_e32 v7, v7                                       // 0000000065E4: 7E0E4507
	v_mul_f32_e32 v108, v108, v4                               // 0000000065E8: 0AD8096C
	v_mul_f32_e32 v109, v109, v5                               // 0000000065EC: 0ADA0B6D
	v_mul_f32_e32 v110, v110, v6                               // 0000000065F0: 0ADC0D6E
	v_mul_f32_e32 v111, v111, v7                               // 0000000065F4: 0ADE0F6F
	v_mul_f32_e32 v108, v108, v172                             // 0000000065F8: 0AD9596C
	v_mul_f32_e32 v109, v109, v173                             // 0000000065FC: 0ADB5B6D
	v_mul_f32_e32 v110, v110, v174                             // 000000006600: 0ADD5D6E
	v_mul_f32_e32 v111, v111, v175                             // 000000006604: 0ADF5F6F
	v_pk_mul_f32 v[4:5], v[112:113], v[112:113]                // 000000006608: D3B14004 1802E170
	v_pk_mul_f32 v[6:7], v[114:115], v[114:115]                // 000000006610: D3B14006 1802E572
	v_pk_fma_f32 v[4:5], v[4:5], s[78:79], v[8:9]              // 000000006618: D3B04004 1C209D04
	v_pk_fma_f32 v[6:7], v[6:7], s[78:79], v[8:9]              // 000000006620: D3B04006 1C209D06
	v_pk_mul_f32 v[4:5], v[4:5], v[112:113]                    // 000000006628: D3B14004 1802E104
	v_pk_mul_f32 v[6:7], v[6:7], v[114:115]                    // 000000006630: D3B14006 1802E506
	v_pk_mul_f32 v[4:5], v[4:5], s[60:61]                      // 000000006638: D3B14004 18007904
	v_pk_mul_f32 v[6:7], v[6:7], s[60:61]                      // 000000006640: D3B14006 18007906
	v_exp_f32_e32 v4, v4                                       // 000000006648: 7E084104
	v_exp_f32_e32 v5, v5                                       // 00000000664C: 7E0A4105
	v_exp_f32_e32 v6, v6                                       // 000000006650: 7E0C4106
	v_exp_f32_e32 v7, v7                                       // 000000006654: 7E0E4107
	v_add_f32_e64 v4, v4, 1.0                                  // 000000006658: D1010004 0001E504
	v_add_f32_e64 v5, v5, 1.0                                  // 000000006660: D1010005 0001E505
	v_add_f32_e64 v6, v6, 1.0                                  // 000000006668: D1010006 0001E506
	v_add_f32_e64 v7, v7, 1.0                                  // 000000006670: D1010007 0001E507
	v_rcp_f32_e32 v4, v4                                       // 000000006678: 7E084504
	v_rcp_f32_e32 v5, v5                                       // 00000000667C: 7E0A4505
	v_rcp_f32_e32 v6, v6                                       // 000000006680: 7E0C4506
	v_rcp_f32_e32 v7, v7                                       // 000000006684: 7E0E4507
	v_mul_f32_e32 v112, v112, v4                               // 000000006688: 0AE00970
	v_mul_f32_e32 v113, v113, v5                               // 00000000668C: 0AE20B71
	v_mul_f32_e32 v114, v114, v6                               // 000000006690: 0AE40D72
	v_mul_f32_e32 v115, v115, v7                               // 000000006694: 0AE60F73
	v_mul_f32_e32 v112, v112, v176                             // 000000006698: 0AE16170
	v_mul_f32_e32 v113, v113, v177                             // 00000000669C: 0AE36371
	v_mul_f32_e32 v114, v114, v178                             // 0000000066A0: 0AE56572
	v_mul_f32_e32 v115, v115, v179                             // 0000000066A4: 0AE76773
	s_branch label_112B                                        // 0000000066A8: BF820200

00000000000066ac <label_0F2B>:
	v_mul_f32_e64 v4, -v52, s6                                 // 0000000066AC: D1050004 20000D34
	v_mul_f32_e64 v5, -v53, s6                                 // 0000000066B4: D1050005 20000D35
	v_mul_f32_e64 v6, -v54, s6                                 // 0000000066BC: D1050006 20000D36
	v_mul_f32_e64 v7, -v55, s6                                 // 0000000066C4: D1050007 20000D37
	v_exp_f32_e32 v4, v4                                       // 0000000066CC: 7E084104
	v_exp_f32_e32 v5, v5                                       // 0000000066D0: 7E0A4105
	v_exp_f32_e32 v6, v6                                       // 0000000066D4: 7E0C4106
	v_exp_f32_e32 v7, v7                                       // 0000000066D8: 7E0E4107
	v_add_f32_e64 v4, v4, 1.0                                  // 0000000066DC: D1010004 0001E504
	v_add_f32_e64 v5, v5, 1.0                                  // 0000000066E4: D1010005 0001E505
	v_add_f32_e64 v6, v6, 1.0                                  // 0000000066EC: D1010006 0001E506
	v_add_f32_e64 v7, v7, 1.0                                  // 0000000066F4: D1010007 0001E507
	v_rcp_f32_e32 v4, v4                                       // 0000000066FC: 7E084504
	v_rcp_f32_e32 v5, v5                                       // 000000006700: 7E0A4505
	v_rcp_f32_e32 v6, v6                                       // 000000006704: 7E0C4506
	v_rcp_f32_e32 v7, v7                                       // 000000006708: 7E0E4507
	v_mul_f32_e32 v52, v52, v4                                 // 00000000670C: 0A680934
	v_mul_f32_e32 v53, v53, v5                                 // 000000006710: 0A6A0B35
	v_mul_f32_e32 v54, v54, v6                                 // 000000006714: 0A6C0D36
	v_mul_f32_e32 v55, v55, v7                                 // 000000006718: 0A6E0F37
	v_mul_f32_e32 v52, v52, v116                               // 00000000671C: 0A68E934
	v_mul_f32_e32 v53, v53, v117                               // 000000006720: 0A6AEB35
	v_mul_f32_e32 v54, v54, v118                               // 000000006724: 0A6CED36
	v_mul_f32_e32 v55, v55, v119                               // 000000006728: 0A6EEF37
	v_mul_f32_e64 v4, -v56, s6                                 // 00000000672C: D1050004 20000D38
	v_mul_f32_e64 v5, -v57, s6                                 // 000000006734: D1050005 20000D39
	v_mul_f32_e64 v6, -v58, s6                                 // 00000000673C: D1050006 20000D3A
	v_mul_f32_e64 v7, -v59, s6                                 // 000000006744: D1050007 20000D3B
	v_exp_f32_e32 v4, v4                                       // 00000000674C: 7E084104
	v_exp_f32_e32 v5, v5                                       // 000000006750: 7E0A4105
	v_exp_f32_e32 v6, v6                                       // 000000006754: 7E0C4106
	v_exp_f32_e32 v7, v7                                       // 000000006758: 7E0E4107
	v_add_f32_e64 v4, v4, 1.0                                  // 00000000675C: D1010004 0001E504
	v_add_f32_e64 v5, v5, 1.0                                  // 000000006764: D1010005 0001E505
	v_add_f32_e64 v6, v6, 1.0                                  // 00000000676C: D1010006 0001E506
	v_add_f32_e64 v7, v7, 1.0                                  // 000000006774: D1010007 0001E507
	v_rcp_f32_e32 v4, v4                                       // 00000000677C: 7E084504
	v_rcp_f32_e32 v5, v5                                       // 000000006780: 7E0A4505
	v_rcp_f32_e32 v6, v6                                       // 000000006784: 7E0C4506
	v_rcp_f32_e32 v7, v7                                       // 000000006788: 7E0E4507
	v_mul_f32_e32 v56, v56, v4                                 // 00000000678C: 0A700938
	v_mul_f32_e32 v57, v57, v5                                 // 000000006790: 0A720B39
	v_mul_f32_e32 v58, v58, v6                                 // 000000006794: 0A740D3A
	v_mul_f32_e32 v59, v59, v7                                 // 000000006798: 0A760F3B
	v_mul_f32_e32 v56, v56, v120                               // 00000000679C: 0A70F138
	v_mul_f32_e32 v57, v57, v121                               // 0000000067A0: 0A72F339
	v_mul_f32_e32 v58, v58, v122                               // 0000000067A4: 0A74F53A
	v_mul_f32_e32 v59, v59, v123                               // 0000000067A8: 0A76F73B
	v_mul_f32_e64 v4, -v60, s6                                 // 0000000067AC: D1050004 20000D3C
	v_mul_f32_e64 v5, -v61, s6                                 // 0000000067B4: D1050005 20000D3D
	v_mul_f32_e64 v6, -v62, s6                                 // 0000000067BC: D1050006 20000D3E
	v_mul_f32_e64 v7, -v63, s6                                 // 0000000067C4: D1050007 20000D3F
	v_exp_f32_e32 v4, v4                                       // 0000000067CC: 7E084104
	v_exp_f32_e32 v5, v5                                       // 0000000067D0: 7E0A4105
	v_exp_f32_e32 v6, v6                                       // 0000000067D4: 7E0C4106
	v_exp_f32_e32 v7, v7                                       // 0000000067D8: 7E0E4107
	v_add_f32_e64 v4, v4, 1.0                                  // 0000000067DC: D1010004 0001E504
	v_add_f32_e64 v5, v5, 1.0                                  // 0000000067E4: D1010005 0001E505
	v_add_f32_e64 v6, v6, 1.0                                  // 0000000067EC: D1010006 0001E506
	v_add_f32_e64 v7, v7, 1.0                                  // 0000000067F4: D1010007 0001E507
	v_rcp_f32_e32 v4, v4                                       // 0000000067FC: 7E084504
	v_rcp_f32_e32 v5, v5                                       // 000000006800: 7E0A4505
	v_rcp_f32_e32 v6, v6                                       // 000000006804: 7E0C4506
	v_rcp_f32_e32 v7, v7                                       // 000000006808: 7E0E4507
	v_mul_f32_e32 v60, v60, v4                                 // 00000000680C: 0A78093C
	v_mul_f32_e32 v61, v61, v5                                 // 000000006810: 0A7A0B3D
	v_mul_f32_e32 v62, v62, v6                                 // 000000006814: 0A7C0D3E
	v_mul_f32_e32 v63, v63, v7                                 // 000000006818: 0A7E0F3F
	v_mul_f32_e32 v60, v60, v124                               // 00000000681C: 0A78F93C
	v_mul_f32_e32 v61, v61, v125                               // 000000006820: 0A7AFB3D
	v_mul_f32_e32 v62, v62, v126                               // 000000006824: 0A7CFD3E
	v_mul_f32_e32 v63, v63, v127                               // 000000006828: 0A7EFF3F
	v_mul_f32_e64 v4, -v64, s6                                 // 00000000682C: D1050004 20000D40
	v_mul_f32_e64 v5, -v65, s6                                 // 000000006834: D1050005 20000D41
	v_mul_f32_e64 v6, -v66, s6                                 // 00000000683C: D1050006 20000D42
	v_mul_f32_e64 v7, -v67, s6                                 // 000000006844: D1050007 20000D43
	v_exp_f32_e32 v4, v4                                       // 00000000684C: 7E084104
	v_exp_f32_e32 v5, v5                                       // 000000006850: 7E0A4105
	v_exp_f32_e32 v6, v6                                       // 000000006854: 7E0C4106
	v_exp_f32_e32 v7, v7                                       // 000000006858: 7E0E4107
	v_add_f32_e64 v4, v4, 1.0                                  // 00000000685C: D1010004 0001E504
	v_add_f32_e64 v5, v5, 1.0                                  // 000000006864: D1010005 0001E505
	v_add_f32_e64 v6, v6, 1.0                                  // 00000000686C: D1010006 0001E506
	v_add_f32_e64 v7, v7, 1.0                                  // 000000006874: D1010007 0001E507
	v_rcp_f32_e32 v4, v4                                       // 00000000687C: 7E084504
	v_rcp_f32_e32 v5, v5                                       // 000000006880: 7E0A4505
	v_rcp_f32_e32 v6, v6                                       // 000000006884: 7E0C4506
	v_rcp_f32_e32 v7, v7                                       // 000000006888: 7E0E4507
	v_mul_f32_e32 v64, v64, v4                                 // 00000000688C: 0A800940
	v_mul_f32_e32 v65, v65, v5                                 // 000000006890: 0A820B41
	v_mul_f32_e32 v66, v66, v6                                 // 000000006894: 0A840D42
	v_mul_f32_e32 v67, v67, v7                                 // 000000006898: 0A860F43
	v_mul_f32_e32 v64, v64, v128                               // 00000000689C: 0A810140
	v_mul_f32_e32 v65, v65, v129                               // 0000000068A0: 0A830341
	v_mul_f32_e32 v66, v66, v130                               // 0000000068A4: 0A850542
	v_mul_f32_e32 v67, v67, v131                               // 0000000068A8: 0A870743
	v_mul_f32_e64 v4, -v68, s6                                 // 0000000068AC: D1050004 20000D44
	v_mul_f32_e64 v5, -v69, s6                                 // 0000000068B4: D1050005 20000D45
	v_mul_f32_e64 v6, -v70, s6                                 // 0000000068BC: D1050006 20000D46
	v_mul_f32_e64 v7, -v71, s6                                 // 0000000068C4: D1050007 20000D47
	v_exp_f32_e32 v4, v4                                       // 0000000068CC: 7E084104
	v_exp_f32_e32 v5, v5                                       // 0000000068D0: 7E0A4105
	v_exp_f32_e32 v6, v6                                       // 0000000068D4: 7E0C4106
	v_exp_f32_e32 v7, v7                                       // 0000000068D8: 7E0E4107
	v_add_f32_e64 v4, v4, 1.0                                  // 0000000068DC: D1010004 0001E504
	v_add_f32_e64 v5, v5, 1.0                                  // 0000000068E4: D1010005 0001E505
	v_add_f32_e64 v6, v6, 1.0                                  // 0000000068EC: D1010006 0001E506
	v_add_f32_e64 v7, v7, 1.0                                  // 0000000068F4: D1010007 0001E507
	v_rcp_f32_e32 v4, v4                                       // 0000000068FC: 7E084504
	v_rcp_f32_e32 v5, v5                                       // 000000006900: 7E0A4505
	v_rcp_f32_e32 v6, v6                                       // 000000006904: 7E0C4506
	v_rcp_f32_e32 v7, v7                                       // 000000006908: 7E0E4507
	v_mul_f32_e32 v68, v68, v4                                 // 00000000690C: 0A880944
	v_mul_f32_e32 v69, v69, v5                                 // 000000006910: 0A8A0B45
	v_mul_f32_e32 v70, v70, v6                                 // 000000006914: 0A8C0D46
	v_mul_f32_e32 v71, v71, v7                                 // 000000006918: 0A8E0F47
	v_mul_f32_e32 v68, v68, v132                               // 00000000691C: 0A890944
	v_mul_f32_e32 v69, v69, v133                               // 000000006920: 0A8B0B45
	v_mul_f32_e32 v70, v70, v134                               // 000000006924: 0A8D0D46
	v_mul_f32_e32 v71, v71, v135                               // 000000006928: 0A8F0F47
	v_mul_f32_e64 v4, -v72, s6                                 // 00000000692C: D1050004 20000D48
	v_mul_f32_e64 v5, -v73, s6                                 // 000000006934: D1050005 20000D49
	v_mul_f32_e64 v6, -v74, s6                                 // 00000000693C: D1050006 20000D4A
	v_mul_f32_e64 v7, -v75, s6                                 // 000000006944: D1050007 20000D4B
	v_exp_f32_e32 v4, v4                                       // 00000000694C: 7E084104
	v_exp_f32_e32 v5, v5                                       // 000000006950: 7E0A4105
	v_exp_f32_e32 v6, v6                                       // 000000006954: 7E0C4106
	v_exp_f32_e32 v7, v7                                       // 000000006958: 7E0E4107
	v_add_f32_e64 v4, v4, 1.0                                  // 00000000695C: D1010004 0001E504
	v_add_f32_e64 v5, v5, 1.0                                  // 000000006964: D1010005 0001E505
	v_add_f32_e64 v6, v6, 1.0                                  // 00000000696C: D1010006 0001E506
	v_add_f32_e64 v7, v7, 1.0                                  // 000000006974: D1010007 0001E507
	v_rcp_f32_e32 v4, v4                                       // 00000000697C: 7E084504
	v_rcp_f32_e32 v5, v5                                       // 000000006980: 7E0A4505
	v_rcp_f32_e32 v6, v6                                       // 000000006984: 7E0C4506
	v_rcp_f32_e32 v7, v7                                       // 000000006988: 7E0E4507
	v_mul_f32_e32 v72, v72, v4                                 // 00000000698C: 0A900948
	v_mul_f32_e32 v73, v73, v5                                 // 000000006990: 0A920B49
	v_mul_f32_e32 v74, v74, v6                                 // 000000006994: 0A940D4A
	v_mul_f32_e32 v75, v75, v7                                 // 000000006998: 0A960F4B
	v_mul_f32_e32 v72, v72, v136                               // 00000000699C: 0A911148
	v_mul_f32_e32 v73, v73, v137                               // 0000000069A0: 0A931349
	v_mul_f32_e32 v74, v74, v138                               // 0000000069A4: 0A95154A
	v_mul_f32_e32 v75, v75, v139                               // 0000000069A8: 0A97174B
	v_mul_f32_e64 v4, -v76, s6                                 // 0000000069AC: D1050004 20000D4C
	v_mul_f32_e64 v5, -v77, s6                                 // 0000000069B4: D1050005 20000D4D
	v_mul_f32_e64 v6, -v78, s6                                 // 0000000069BC: D1050006 20000D4E
	v_mul_f32_e64 v7, -v79, s6                                 // 0000000069C4: D1050007 20000D4F
	v_exp_f32_e32 v4, v4                                       // 0000000069CC: 7E084104
	v_exp_f32_e32 v5, v5                                       // 0000000069D0: 7E0A4105
	v_exp_f32_e32 v6, v6                                       // 0000000069D4: 7E0C4106
	v_exp_f32_e32 v7, v7                                       // 0000000069D8: 7E0E4107
	v_add_f32_e64 v4, v4, 1.0                                  // 0000000069DC: D1010004 0001E504
	v_add_f32_e64 v5, v5, 1.0                                  // 0000000069E4: D1010005 0001E505
	v_add_f32_e64 v6, v6, 1.0                                  // 0000000069EC: D1010006 0001E506
	v_add_f32_e64 v7, v7, 1.0                                  // 0000000069F4: D1010007 0001E507
	v_rcp_f32_e32 v4, v4                                       // 0000000069FC: 7E084504
	v_rcp_f32_e32 v5, v5                                       // 000000006A00: 7E0A4505
	v_rcp_f32_e32 v6, v6                                       // 000000006A04: 7E0C4506
	v_rcp_f32_e32 v7, v7                                       // 000000006A08: 7E0E4507
	v_mul_f32_e32 v76, v76, v4                                 // 000000006A0C: 0A98094C
	v_mul_f32_e32 v77, v77, v5                                 // 000000006A10: 0A9A0B4D
	v_mul_f32_e32 v78, v78, v6                                 // 000000006A14: 0A9C0D4E
	v_mul_f32_e32 v79, v79, v7                                 // 000000006A18: 0A9E0F4F
	v_mul_f32_e32 v76, v76, v140                               // 000000006A1C: 0A99194C
	v_mul_f32_e32 v77, v77, v141                               // 000000006A20: 0A9B1B4D
	v_mul_f32_e32 v78, v78, v142                               // 000000006A24: 0A9D1D4E
	v_mul_f32_e32 v79, v79, v143                               // 000000006A28: 0A9F1F4F
	v_mul_f32_e64 v4, -v80, s6                                 // 000000006A2C: D1050004 20000D50
	v_mul_f32_e64 v5, -v81, s6                                 // 000000006A34: D1050005 20000D51
	v_mul_f32_e64 v6, -v82, s6                                 // 000000006A3C: D1050006 20000D52
	v_mul_f32_e64 v7, -v83, s6                                 // 000000006A44: D1050007 20000D53
	v_exp_f32_e32 v4, v4                                       // 000000006A4C: 7E084104
	v_exp_f32_e32 v5, v5                                       // 000000006A50: 7E0A4105
	v_exp_f32_e32 v6, v6                                       // 000000006A54: 7E0C4106
	v_exp_f32_e32 v7, v7                                       // 000000006A58: 7E0E4107
	v_add_f32_e64 v4, v4, 1.0                                  // 000000006A5C: D1010004 0001E504
	v_add_f32_e64 v5, v5, 1.0                                  // 000000006A64: D1010005 0001E505
	v_add_f32_e64 v6, v6, 1.0                                  // 000000006A6C: D1010006 0001E506
	v_add_f32_e64 v7, v7, 1.0                                  // 000000006A74: D1010007 0001E507
	v_rcp_f32_e32 v4, v4                                       // 000000006A7C: 7E084504
	v_rcp_f32_e32 v5, v5                                       // 000000006A80: 7E0A4505
	v_rcp_f32_e32 v6, v6                                       // 000000006A84: 7E0C4506
	v_rcp_f32_e32 v7, v7                                       // 000000006A88: 7E0E4507
	v_mul_f32_e32 v80, v80, v4                                 // 000000006A8C: 0AA00950
	v_mul_f32_e32 v81, v81, v5                                 // 000000006A90: 0AA20B51
	v_mul_f32_e32 v82, v82, v6                                 // 000000006A94: 0AA40D52
	v_mul_f32_e32 v83, v83, v7                                 // 000000006A98: 0AA60F53
	v_mul_f32_e32 v80, v80, v144                               // 000000006A9C: 0AA12150
	v_mul_f32_e32 v81, v81, v145                               // 000000006AA0: 0AA32351
	v_mul_f32_e32 v82, v82, v146                               // 000000006AA4: 0AA52552
	v_mul_f32_e32 v83, v83, v147                               // 000000006AA8: 0AA72753
	v_mul_f32_e64 v4, -v84, s6                                 // 000000006AAC: D1050004 20000D54
	v_mul_f32_e64 v5, -v85, s6                                 // 000000006AB4: D1050005 20000D55
	v_mul_f32_e64 v6, -v86, s6                                 // 000000006ABC: D1050006 20000D56
	v_mul_f32_e64 v7, -v87, s6                                 // 000000006AC4: D1050007 20000D57
	v_exp_f32_e32 v4, v4                                       // 000000006ACC: 7E084104
	v_exp_f32_e32 v5, v5                                       // 000000006AD0: 7E0A4105
	v_exp_f32_e32 v6, v6                                       // 000000006AD4: 7E0C4106
	v_exp_f32_e32 v7, v7                                       // 000000006AD8: 7E0E4107
	v_add_f32_e64 v4, v4, 1.0                                  // 000000006ADC: D1010004 0001E504
	v_add_f32_e64 v5, v5, 1.0                                  // 000000006AE4: D1010005 0001E505
	v_add_f32_e64 v6, v6, 1.0                                  // 000000006AEC: D1010006 0001E506
	v_add_f32_e64 v7, v7, 1.0                                  // 000000006AF4: D1010007 0001E507
	v_rcp_f32_e32 v4, v4                                       // 000000006AFC: 7E084504
	v_rcp_f32_e32 v5, v5                                       // 000000006B00: 7E0A4505
	v_rcp_f32_e32 v6, v6                                       // 000000006B04: 7E0C4506
	v_rcp_f32_e32 v7, v7                                       // 000000006B08: 7E0E4507
	v_mul_f32_e32 v84, v84, v4                                 // 000000006B0C: 0AA80954
	v_mul_f32_e32 v85, v85, v5                                 // 000000006B10: 0AAA0B55
	v_mul_f32_e32 v86, v86, v6                                 // 000000006B14: 0AAC0D56
	v_mul_f32_e32 v87, v87, v7                                 // 000000006B18: 0AAE0F57
	v_mul_f32_e32 v84, v84, v148                               // 000000006B1C: 0AA92954
	v_mul_f32_e32 v85, v85, v149                               // 000000006B20: 0AAB2B55
	v_mul_f32_e32 v86, v86, v150                               // 000000006B24: 0AAD2D56
	v_mul_f32_e32 v87, v87, v151                               // 000000006B28: 0AAF2F57
	v_mul_f32_e64 v4, -v88, s6                                 // 000000006B2C: D1050004 20000D58
	v_mul_f32_e64 v5, -v89, s6                                 // 000000006B34: D1050005 20000D59
	v_mul_f32_e64 v6, -v90, s6                                 // 000000006B3C: D1050006 20000D5A
	v_mul_f32_e64 v7, -v91, s6                                 // 000000006B44: D1050007 20000D5B
	v_exp_f32_e32 v4, v4                                       // 000000006B4C: 7E084104
	v_exp_f32_e32 v5, v5                                       // 000000006B50: 7E0A4105
	v_exp_f32_e32 v6, v6                                       // 000000006B54: 7E0C4106
	v_exp_f32_e32 v7, v7                                       // 000000006B58: 7E0E4107
	v_add_f32_e64 v4, v4, 1.0                                  // 000000006B5C: D1010004 0001E504
	v_add_f32_e64 v5, v5, 1.0                                  // 000000006B64: D1010005 0001E505
	v_add_f32_e64 v6, v6, 1.0                                  // 000000006B6C: D1010006 0001E506
	v_add_f32_e64 v7, v7, 1.0                                  // 000000006B74: D1010007 0001E507
	v_rcp_f32_e32 v4, v4                                       // 000000006B7C: 7E084504
	v_rcp_f32_e32 v5, v5                                       // 000000006B80: 7E0A4505
	v_rcp_f32_e32 v6, v6                                       // 000000006B84: 7E0C4506
	v_rcp_f32_e32 v7, v7                                       // 000000006B88: 7E0E4507
	v_mul_f32_e32 v88, v88, v4                                 // 000000006B8C: 0AB00958
	v_mul_f32_e32 v89, v89, v5                                 // 000000006B90: 0AB20B59
	v_mul_f32_e32 v90, v90, v6                                 // 000000006B94: 0AB40D5A
	v_mul_f32_e32 v91, v91, v7                                 // 000000006B98: 0AB60F5B
	v_mul_f32_e32 v88, v88, v152                               // 000000006B9C: 0AB13158
	v_mul_f32_e32 v89, v89, v153                               // 000000006BA0: 0AB33359
	v_mul_f32_e32 v90, v90, v154                               // 000000006BA4: 0AB5355A
	v_mul_f32_e32 v91, v91, v155                               // 000000006BA8: 0AB7375B
	v_mul_f32_e64 v4, -v92, s6                                 // 000000006BAC: D1050004 20000D5C
	v_mul_f32_e64 v5, -v93, s6                                 // 000000006BB4: D1050005 20000D5D
	v_mul_f32_e64 v6, -v94, s6                                 // 000000006BBC: D1050006 20000D5E
	v_mul_f32_e64 v7, -v95, s6                                 // 000000006BC4: D1050007 20000D5F
	v_exp_f32_e32 v4, v4                                       // 000000006BCC: 7E084104
	v_exp_f32_e32 v5, v5                                       // 000000006BD0: 7E0A4105
	v_exp_f32_e32 v6, v6                                       // 000000006BD4: 7E0C4106
	v_exp_f32_e32 v7, v7                                       // 000000006BD8: 7E0E4107
	v_add_f32_e64 v4, v4, 1.0                                  // 000000006BDC: D1010004 0001E504
	v_add_f32_e64 v5, v5, 1.0                                  // 000000006BE4: D1010005 0001E505
	v_add_f32_e64 v6, v6, 1.0                                  // 000000006BEC: D1010006 0001E506
	v_add_f32_e64 v7, v7, 1.0                                  // 000000006BF4: D1010007 0001E507
	v_rcp_f32_e32 v4, v4                                       // 000000006BFC: 7E084504
	v_rcp_f32_e32 v5, v5                                       // 000000006C00: 7E0A4505
	v_rcp_f32_e32 v6, v6                                       // 000000006C04: 7E0C4506
	v_rcp_f32_e32 v7, v7                                       // 000000006C08: 7E0E4507
	v_mul_f32_e32 v92, v92, v4                                 // 000000006C0C: 0AB8095C
	v_mul_f32_e32 v93, v93, v5                                 // 000000006C10: 0ABA0B5D
	v_mul_f32_e32 v94, v94, v6                                 // 000000006C14: 0ABC0D5E
	v_mul_f32_e32 v95, v95, v7                                 // 000000006C18: 0ABE0F5F
	v_mul_f32_e32 v92, v92, v156                               // 000000006C1C: 0AB9395C
	v_mul_f32_e32 v93, v93, v157                               // 000000006C20: 0ABB3B5D
	v_mul_f32_e32 v94, v94, v158                               // 000000006C24: 0ABD3D5E
	v_mul_f32_e32 v95, v95, v159                               // 000000006C28: 0ABF3F5F
	v_mul_f32_e64 v4, -v96, s6                                 // 000000006C2C: D1050004 20000D60
	v_mul_f32_e64 v5, -v97, s6                                 // 000000006C34: D1050005 20000D61
	v_mul_f32_e64 v6, -v98, s6                                 // 000000006C3C: D1050006 20000D62
	v_mul_f32_e64 v7, -v99, s6                                 // 000000006C44: D1050007 20000D63
	v_exp_f32_e32 v4, v4                                       // 000000006C4C: 7E084104
	v_exp_f32_e32 v5, v5                                       // 000000006C50: 7E0A4105
	v_exp_f32_e32 v6, v6                                       // 000000006C54: 7E0C4106
	v_exp_f32_e32 v7, v7                                       // 000000006C58: 7E0E4107
	v_add_f32_e64 v4, v4, 1.0                                  // 000000006C5C: D1010004 0001E504
	v_add_f32_e64 v5, v5, 1.0                                  // 000000006C64: D1010005 0001E505
	v_add_f32_e64 v6, v6, 1.0                                  // 000000006C6C: D1010006 0001E506
	v_add_f32_e64 v7, v7, 1.0                                  // 000000006C74: D1010007 0001E507
	v_rcp_f32_e32 v4, v4                                       // 000000006C7C: 7E084504
	v_rcp_f32_e32 v5, v5                                       // 000000006C80: 7E0A4505
	v_rcp_f32_e32 v6, v6                                       // 000000006C84: 7E0C4506
	v_rcp_f32_e32 v7, v7                                       // 000000006C88: 7E0E4507
	v_mul_f32_e32 v96, v96, v4                                 // 000000006C8C: 0AC00960
	v_mul_f32_e32 v97, v97, v5                                 // 000000006C90: 0AC20B61
	v_mul_f32_e32 v98, v98, v6                                 // 000000006C94: 0AC40D62
	v_mul_f32_e32 v99, v99, v7                                 // 000000006C98: 0AC60F63
	v_mul_f32_e32 v96, v96, v160                               // 000000006C9C: 0AC14160
	v_mul_f32_e32 v97, v97, v161                               // 000000006CA0: 0AC34361
	v_mul_f32_e32 v98, v98, v162                               // 000000006CA4: 0AC54562
	v_mul_f32_e32 v99, v99, v163                               // 000000006CA8: 0AC74763
	v_mul_f32_e64 v4, -v100, s6                                // 000000006CAC: D1050004 20000D64
	v_mul_f32_e64 v5, -v101, s6                                // 000000006CB4: D1050005 20000D65
	v_mul_f32_e64 v6, -v102, s6                                // 000000006CBC: D1050006 20000D66
	v_mul_f32_e64 v7, -v103, s6                                // 000000006CC4: D1050007 20000D67
	v_exp_f32_e32 v4, v4                                       // 000000006CCC: 7E084104
	v_exp_f32_e32 v5, v5                                       // 000000006CD0: 7E0A4105
	v_exp_f32_e32 v6, v6                                       // 000000006CD4: 7E0C4106
	v_exp_f32_e32 v7, v7                                       // 000000006CD8: 7E0E4107
	v_add_f32_e64 v4, v4, 1.0                                  // 000000006CDC: D1010004 0001E504
	v_add_f32_e64 v5, v5, 1.0                                  // 000000006CE4: D1010005 0001E505
	v_add_f32_e64 v6, v6, 1.0                                  // 000000006CEC: D1010006 0001E506
	v_add_f32_e64 v7, v7, 1.0                                  // 000000006CF4: D1010007 0001E507
	v_rcp_f32_e32 v4, v4                                       // 000000006CFC: 7E084504
	v_rcp_f32_e32 v5, v5                                       // 000000006D00: 7E0A4505
	v_rcp_f32_e32 v6, v6                                       // 000000006D04: 7E0C4506
	v_rcp_f32_e32 v7, v7                                       // 000000006D08: 7E0E4507
	v_mul_f32_e32 v100, v100, v4                               // 000000006D0C: 0AC80964
	v_mul_f32_e32 v101, v101, v5                               // 000000006D10: 0ACA0B65
	v_mul_f32_e32 v102, v102, v6                               // 000000006D14: 0ACC0D66
	v_mul_f32_e32 v103, v103, v7                               // 000000006D18: 0ACE0F67
	v_mul_f32_e32 v100, v100, v164                             // 000000006D1C: 0AC94964
	v_mul_f32_e32 v101, v101, v165                             // 000000006D20: 0ACB4B65
	v_mul_f32_e32 v102, v102, v166                             // 000000006D24: 0ACD4D66
	v_mul_f32_e32 v103, v103, v167                             // 000000006D28: 0ACF4F67
	v_mul_f32_e64 v4, -v104, s6                                // 000000006D2C: D1050004 20000D68
	v_mul_f32_e64 v5, -v105, s6                                // 000000006D34: D1050005 20000D69
	v_mul_f32_e64 v6, -v106, s6                                // 000000006D3C: D1050006 20000D6A
	v_mul_f32_e64 v7, -v107, s6                                // 000000006D44: D1050007 20000D6B
	v_exp_f32_e32 v4, v4                                       // 000000006D4C: 7E084104
	v_exp_f32_e32 v5, v5                                       // 000000006D50: 7E0A4105
	v_exp_f32_e32 v6, v6                                       // 000000006D54: 7E0C4106
	v_exp_f32_e32 v7, v7                                       // 000000006D58: 7E0E4107
	v_add_f32_e64 v4, v4, 1.0                                  // 000000006D5C: D1010004 0001E504
	v_add_f32_e64 v5, v5, 1.0                                  // 000000006D64: D1010005 0001E505
	v_add_f32_e64 v6, v6, 1.0                                  // 000000006D6C: D1010006 0001E506
	v_add_f32_e64 v7, v7, 1.0                                  // 000000006D74: D1010007 0001E507
	v_rcp_f32_e32 v4, v4                                       // 000000006D7C: 7E084504
	v_rcp_f32_e32 v5, v5                                       // 000000006D80: 7E0A4505
	v_rcp_f32_e32 v6, v6                                       // 000000006D84: 7E0C4506
	v_rcp_f32_e32 v7, v7                                       // 000000006D88: 7E0E4507
	v_mul_f32_e32 v104, v104, v4                               // 000000006D8C: 0AD00968
	v_mul_f32_e32 v105, v105, v5                               // 000000006D90: 0AD20B69
	v_mul_f32_e32 v106, v106, v6                               // 000000006D94: 0AD40D6A
	v_mul_f32_e32 v107, v107, v7                               // 000000006D98: 0AD60F6B
	v_mul_f32_e32 v104, v104, v168                             // 000000006D9C: 0AD15168
	v_mul_f32_e32 v105, v105, v169                             // 000000006DA0: 0AD35369
	v_mul_f32_e32 v106, v106, v170                             // 000000006DA4: 0AD5556A
	v_mul_f32_e32 v107, v107, v171                             // 000000006DA8: 0AD7576B
	v_mul_f32_e64 v4, -v108, s6                                // 000000006DAC: D1050004 20000D6C
	v_mul_f32_e64 v5, -v109, s6                                // 000000006DB4: D1050005 20000D6D
	v_mul_f32_e64 v6, -v110, s6                                // 000000006DBC: D1050006 20000D6E
	v_mul_f32_e64 v7, -v111, s6                                // 000000006DC4: D1050007 20000D6F
	v_exp_f32_e32 v4, v4                                       // 000000006DCC: 7E084104
	v_exp_f32_e32 v5, v5                                       // 000000006DD0: 7E0A4105
	v_exp_f32_e32 v6, v6                                       // 000000006DD4: 7E0C4106
	v_exp_f32_e32 v7, v7                                       // 000000006DD8: 7E0E4107
	v_add_f32_e64 v4, v4, 1.0                                  // 000000006DDC: D1010004 0001E504
	v_add_f32_e64 v5, v5, 1.0                                  // 000000006DE4: D1010005 0001E505
	v_add_f32_e64 v6, v6, 1.0                                  // 000000006DEC: D1010006 0001E506
	v_add_f32_e64 v7, v7, 1.0                                  // 000000006DF4: D1010007 0001E507
	v_rcp_f32_e32 v4, v4                                       // 000000006DFC: 7E084504
	v_rcp_f32_e32 v5, v5                                       // 000000006E00: 7E0A4505
	v_rcp_f32_e32 v6, v6                                       // 000000006E04: 7E0C4506
	v_rcp_f32_e32 v7, v7                                       // 000000006E08: 7E0E4507
	v_mul_f32_e32 v108, v108, v4                               // 000000006E0C: 0AD8096C
	v_mul_f32_e32 v109, v109, v5                               // 000000006E10: 0ADA0B6D
	v_mul_f32_e32 v110, v110, v6                               // 000000006E14: 0ADC0D6E
	v_mul_f32_e32 v111, v111, v7                               // 000000006E18: 0ADE0F6F
	v_mul_f32_e32 v108, v108, v172                             // 000000006E1C: 0AD9596C
	v_mul_f32_e32 v109, v109, v173                             // 000000006E20: 0ADB5B6D
	v_mul_f32_e32 v110, v110, v174                             // 000000006E24: 0ADD5D6E
	v_mul_f32_e32 v111, v111, v175                             // 000000006E28: 0ADF5F6F
	v_mul_f32_e64 v4, -v112, s6                                // 000000006E2C: D1050004 20000D70
	v_mul_f32_e64 v5, -v113, s6                                // 000000006E34: D1050005 20000D71
	v_mul_f32_e64 v6, -v114, s6                                // 000000006E3C: D1050006 20000D72
	v_mul_f32_e64 v7, -v115, s6                                // 000000006E44: D1050007 20000D73
	v_exp_f32_e32 v4, v4                                       // 000000006E4C: 7E084104
	v_exp_f32_e32 v5, v5                                       // 000000006E50: 7E0A4105
	v_exp_f32_e32 v6, v6                                       // 000000006E54: 7E0C4106
	v_exp_f32_e32 v7, v7                                       // 000000006E58: 7E0E4107
	v_add_f32_e64 v4, v4, 1.0                                  // 000000006E5C: D1010004 0001E504
	v_add_f32_e64 v5, v5, 1.0                                  // 000000006E64: D1010005 0001E505
	v_add_f32_e64 v6, v6, 1.0                                  // 000000006E6C: D1010006 0001E506
	v_add_f32_e64 v7, v7, 1.0                                  // 000000006E74: D1010007 0001E507
	v_rcp_f32_e32 v4, v4                                       // 000000006E7C: 7E084504
	v_rcp_f32_e32 v5, v5                                       // 000000006E80: 7E0A4505
	v_rcp_f32_e32 v6, v6                                       // 000000006E84: 7E0C4506
	v_rcp_f32_e32 v7, v7                                       // 000000006E88: 7E0E4507
	v_mul_f32_e32 v112, v112, v4                               // 000000006E8C: 0AE00970
	v_mul_f32_e32 v113, v113, v5                               // 000000006E90: 0AE20B71
	v_mul_f32_e32 v114, v114, v6                               // 000000006E94: 0AE40D72
	v_mul_f32_e32 v115, v115, v7                               // 000000006E98: 0AE60F73
	v_mul_f32_e32 v112, v112, v176                             // 000000006E9C: 0AE16170
	v_mul_f32_e32 v113, v113, v177                             // 000000006EA0: 0AE36371
	v_mul_f32_e32 v114, v114, v178                             // 000000006EA4: 0AE56572
	v_mul_f32_e32 v115, v115, v179                             // 000000006EA8: 0AE76773

0000000000006eac <label_112B>:
	v_cmp_u_f32_e64 s[46:47], v52, v52                         // 000000006EAC: D048002E 00026934
	v_add3_u32 v16, v52, v19, 1                                // 000000006EB4: D1FF0010 02062734
	v_cndmask_b32_e64 v4, v16, v18, s[46:47]                   // 000000006EBC: D1000004 00BA2510
	v_cmp_u_f32_e64 s[46:47], v53, v53                         // 000000006EC4: D048002E 00026B35
	v_add3_u32 v16, v53, v19, 1                                // 000000006ECC: D1FF0010 02062735
	v_cndmask_b32_e64 v5, v16, v18, s[46:47]                   // 000000006ED4: D1000005 00BA2510
	v_perm_b32 v52, v5, v4, s52                                // 000000006EDC: D1ED0034 00D20905
	v_cmp_u_f32_e64 s[46:47], v54, v54                         // 000000006EE4: D048002E 00026D36
	v_add3_u32 v16, v54, v19, 1                                // 000000006EEC: D1FF0010 02062736
	v_cndmask_b32_e64 v4, v16, v18, s[46:47]                   // 000000006EF4: D1000004 00BA2510
	v_cmp_u_f32_e64 s[46:47], v55, v55                         // 000000006EFC: D048002E 00026F37
	v_add3_u32 v16, v55, v19, 1                                // 000000006F04: D1FF0010 02062737
	v_cndmask_b32_e64 v5, v16, v18, s[46:47]                   // 000000006F0C: D1000005 00BA2510
	v_perm_b32 v53, v5, v4, s52                                // 000000006F14: D1ED0035 00D20905
	v_cmp_u_f32_e64 s[46:47], v56, v56                         // 000000006F1C: D048002E 00027138
	v_add3_u32 v16, v56, v19, 1                                // 000000006F24: D1FF0010 02062738
	v_cndmask_b32_e64 v4, v16, v18, s[46:47]                   // 000000006F2C: D1000004 00BA2510
	v_cmp_u_f32_e64 s[46:47], v57, v57                         // 000000006F34: D048002E 00027339
	v_add3_u32 v16, v57, v19, 1                                // 000000006F3C: D1FF0010 02062739
	v_cndmask_b32_e64 v5, v16, v18, s[46:47]                   // 000000006F44: D1000005 00BA2510
	v_perm_b32 v54, v5, v4, s52                                // 000000006F4C: D1ED0036 00D20905
	v_cmp_u_f32_e64 s[46:47], v58, v58                         // 000000006F54: D048002E 0002753A
	v_add3_u32 v16, v58, v19, 1                                // 000000006F5C: D1FF0010 0206273A
	v_cndmask_b32_e64 v4, v16, v18, s[46:47]                   // 000000006F64: D1000004 00BA2510
	v_cmp_u_f32_e64 s[46:47], v59, v59                         // 000000006F6C: D048002E 0002773B
	v_add3_u32 v16, v59, v19, 1                                // 000000006F74: D1FF0010 0206273B
	v_cndmask_b32_e64 v5, v16, v18, s[46:47]                   // 000000006F7C: D1000005 00BA2510
	v_perm_b32 v55, v5, v4, s52                                // 000000006F84: D1ED0037 00D20905
	v_cmp_u_f32_e64 s[46:47], v60, v60                         // 000000006F8C: D048002E 0002793C
	v_add3_u32 v16, v60, v19, 1                                // 000000006F94: D1FF0010 0206273C
	v_cndmask_b32_e64 v4, v16, v18, s[46:47]                   // 000000006F9C: D1000004 00BA2510
	v_cmp_u_f32_e64 s[46:47], v61, v61                         // 000000006FA4: D048002E 00027B3D
	v_add3_u32 v16, v61, v19, 1                                // 000000006FAC: D1FF0010 0206273D
	v_cndmask_b32_e64 v5, v16, v18, s[46:47]                   // 000000006FB4: D1000005 00BA2510
	v_perm_b32 v56, v5, v4, s52                                // 000000006FBC: D1ED0038 00D20905
	v_cmp_u_f32_e64 s[46:47], v62, v62                         // 000000006FC4: D048002E 00027D3E
	v_add3_u32 v16, v62, v19, 1                                // 000000006FCC: D1FF0010 0206273E
	v_cndmask_b32_e64 v4, v16, v18, s[46:47]                   // 000000006FD4: D1000004 00BA2510
	v_cmp_u_f32_e64 s[46:47], v63, v63                         // 000000006FDC: D048002E 00027F3F
	v_add3_u32 v16, v63, v19, 1                                // 000000006FE4: D1FF0010 0206273F
	v_cndmask_b32_e64 v5, v16, v18, s[46:47]                   // 000000006FEC: D1000005 00BA2510
	v_perm_b32 v57, v5, v4, s52                                // 000000006FF4: D1ED0039 00D20905
	v_cmp_u_f32_e64 s[46:47], v64, v64                         // 000000006FFC: D048002E 00028140
	v_add3_u32 v16, v64, v19, 1                                // 000000007004: D1FF0010 02062740
	v_cndmask_b32_e64 v4, v16, v18, s[46:47]                   // 00000000700C: D1000004 00BA2510
	v_cmp_u_f32_e64 s[46:47], v65, v65                         // 000000007014: D048002E 00028341
	v_add3_u32 v16, v65, v19, 1                                // 00000000701C: D1FF0010 02062741
	v_cndmask_b32_e64 v5, v16, v18, s[46:47]                   // 000000007024: D1000005 00BA2510
	v_perm_b32 v58, v5, v4, s52                                // 00000000702C: D1ED003A 00D20905
	v_cmp_u_f32_e64 s[46:47], v66, v66                         // 000000007034: D048002E 00028542
	v_add3_u32 v16, v66, v19, 1                                // 00000000703C: D1FF0010 02062742
	v_cndmask_b32_e64 v4, v16, v18, s[46:47]                   // 000000007044: D1000004 00BA2510
	v_cmp_u_f32_e64 s[46:47], v67, v67                         // 00000000704C: D048002E 00028743
	v_add3_u32 v16, v67, v19, 1                                // 000000007054: D1FF0010 02062743
	v_cndmask_b32_e64 v5, v16, v18, s[46:47]                   // 00000000705C: D1000005 00BA2510
	v_perm_b32 v59, v5, v4, s52                                // 000000007064: D1ED003B 00D20905
	v_cmp_u_f32_e64 s[46:47], v68, v68                         // 00000000706C: D048002E 00028944
	v_add3_u32 v16, v68, v19, 1                                // 000000007074: D1FF0010 02062744
	v_cndmask_b32_e64 v4, v16, v18, s[46:47]                   // 00000000707C: D1000004 00BA2510
	v_cmp_u_f32_e64 s[46:47], v69, v69                         // 000000007084: D048002E 00028B45
	v_add3_u32 v16, v69, v19, 1                                // 00000000708C: D1FF0010 02062745
	v_cndmask_b32_e64 v5, v16, v18, s[46:47]                   // 000000007094: D1000005 00BA2510
	v_perm_b32 v60, v5, v4, s52                                // 00000000709C: D1ED003C 00D20905
	v_cmp_u_f32_e64 s[46:47], v70, v70                         // 0000000070A4: D048002E 00028D46
	v_add3_u32 v16, v70, v19, 1                                // 0000000070AC: D1FF0010 02062746
	v_cndmask_b32_e64 v4, v16, v18, s[46:47]                   // 0000000070B4: D1000004 00BA2510
	v_cmp_u_f32_e64 s[46:47], v71, v71                         // 0000000070BC: D048002E 00028F47
	v_add3_u32 v16, v71, v19, 1                                // 0000000070C4: D1FF0010 02062747
	v_cndmask_b32_e64 v5, v16, v18, s[46:47]                   // 0000000070CC: D1000005 00BA2510
	v_perm_b32 v61, v5, v4, s52                                // 0000000070D4: D1ED003D 00D20905
	v_cmp_u_f32_e64 s[46:47], v72, v72                         // 0000000070DC: D048002E 00029148
	v_add3_u32 v16, v72, v19, 1                                // 0000000070E4: D1FF0010 02062748
	v_cndmask_b32_e64 v4, v16, v18, s[46:47]                   // 0000000070EC: D1000004 00BA2510
	v_cmp_u_f32_e64 s[46:47], v73, v73                         // 0000000070F4: D048002E 00029349
	v_add3_u32 v16, v73, v19, 1                                // 0000000070FC: D1FF0010 02062749
	v_cndmask_b32_e64 v5, v16, v18, s[46:47]                   // 000000007104: D1000005 00BA2510
	v_perm_b32 v62, v5, v4, s52                                // 00000000710C: D1ED003E 00D20905
	v_cmp_u_f32_e64 s[46:47], v74, v74                         // 000000007114: D048002E 0002954A
	v_add3_u32 v16, v74, v19, 1                                // 00000000711C: D1FF0010 0206274A
	v_cndmask_b32_e64 v4, v16, v18, s[46:47]                   // 000000007124: D1000004 00BA2510
	v_cmp_u_f32_e64 s[46:47], v75, v75                         // 00000000712C: D048002E 0002974B
	v_add3_u32 v16, v75, v19, 1                                // 000000007134: D1FF0010 0206274B
	v_cndmask_b32_e64 v5, v16, v18, s[46:47]                   // 00000000713C: D1000005 00BA2510
	v_perm_b32 v63, v5, v4, s52                                // 000000007144: D1ED003F 00D20905
	v_cmp_u_f32_e64 s[46:47], v76, v76                         // 00000000714C: D048002E 0002994C
	v_add3_u32 v16, v76, v19, 1                                // 000000007154: D1FF0010 0206274C
	v_cndmask_b32_e64 v4, v16, v18, s[46:47]                   // 00000000715C: D1000004 00BA2510
	v_cmp_u_f32_e64 s[46:47], v77, v77                         // 000000007164: D048002E 00029B4D
	v_add3_u32 v16, v77, v19, 1                                // 00000000716C: D1FF0010 0206274D
	v_cndmask_b32_e64 v5, v16, v18, s[46:47]                   // 000000007174: D1000005 00BA2510
	v_perm_b32 v64, v5, v4, s52                                // 00000000717C: D1ED0040 00D20905
	v_cmp_u_f32_e64 s[46:47], v78, v78                         // 000000007184: D048002E 00029D4E
	v_add3_u32 v16, v78, v19, 1                                // 00000000718C: D1FF0010 0206274E
	v_cndmask_b32_e64 v4, v16, v18, s[46:47]                   // 000000007194: D1000004 00BA2510
	v_cmp_u_f32_e64 s[46:47], v79, v79                         // 00000000719C: D048002E 00029F4F
	v_add3_u32 v16, v79, v19, 1                                // 0000000071A4: D1FF0010 0206274F
	v_cndmask_b32_e64 v5, v16, v18, s[46:47]                   // 0000000071AC: D1000005 00BA2510
	v_perm_b32 v65, v5, v4, s52                                // 0000000071B4: D1ED0041 00D20905
	v_cmp_u_f32_e64 s[46:47], v80, v80                         // 0000000071BC: D048002E 0002A150
	v_add3_u32 v16, v80, v19, 1                                // 0000000071C4: D1FF0010 02062750
	v_cndmask_b32_e64 v4, v16, v18, s[46:47]                   // 0000000071CC: D1000004 00BA2510
	v_cmp_u_f32_e64 s[46:47], v81, v81                         // 0000000071D4: D048002E 0002A351
	v_add3_u32 v16, v81, v19, 1                                // 0000000071DC: D1FF0010 02062751
	v_cndmask_b32_e64 v5, v16, v18, s[46:47]                   // 0000000071E4: D1000005 00BA2510
	v_perm_b32 v66, v5, v4, s52                                // 0000000071EC: D1ED0042 00D20905
	v_cmp_u_f32_e64 s[46:47], v82, v82                         // 0000000071F4: D048002E 0002A552
	v_add3_u32 v16, v82, v19, 1                                // 0000000071FC: D1FF0010 02062752
	v_cndmask_b32_e64 v4, v16, v18, s[46:47]                   // 000000007204: D1000004 00BA2510
	v_cmp_u_f32_e64 s[46:47], v83, v83                         // 00000000720C: D048002E 0002A753
	v_add3_u32 v16, v83, v19, 1                                // 000000007214: D1FF0010 02062753
	v_cndmask_b32_e64 v5, v16, v18, s[46:47]                   // 00000000721C: D1000005 00BA2510
	v_perm_b32 v67, v5, v4, s52                                // 000000007224: D1ED0043 00D20905
	v_cmp_u_f32_e64 s[46:47], v84, v84                         // 00000000722C: D048002E 0002A954
	v_add3_u32 v16, v84, v19, 1                                // 000000007234: D1FF0010 02062754
	v_cndmask_b32_e64 v4, v16, v18, s[46:47]                   // 00000000723C: D1000004 00BA2510
	v_cmp_u_f32_e64 s[46:47], v85, v85                         // 000000007244: D048002E 0002AB55
	v_add3_u32 v16, v85, v19, 1                                // 00000000724C: D1FF0010 02062755
	v_cndmask_b32_e64 v5, v16, v18, s[46:47]                   // 000000007254: D1000005 00BA2510
	v_perm_b32 v68, v5, v4, s52                                // 00000000725C: D1ED0044 00D20905
	v_cmp_u_f32_e64 s[46:47], v86, v86                         // 000000007264: D048002E 0002AD56
	v_add3_u32 v16, v86, v19, 1                                // 00000000726C: D1FF0010 02062756
	v_cndmask_b32_e64 v4, v16, v18, s[46:47]                   // 000000007274: D1000004 00BA2510
	v_cmp_u_f32_e64 s[46:47], v87, v87                         // 00000000727C: D048002E 0002AF57
	v_add3_u32 v16, v87, v19, 1                                // 000000007284: D1FF0010 02062757
	v_cndmask_b32_e64 v5, v16, v18, s[46:47]                   // 00000000728C: D1000005 00BA2510
	v_perm_b32 v69, v5, v4, s52                                // 000000007294: D1ED0045 00D20905
	v_cmp_u_f32_e64 s[46:47], v88, v88                         // 00000000729C: D048002E 0002B158
	v_add3_u32 v16, v88, v19, 1                                // 0000000072A4: D1FF0010 02062758
	v_cndmask_b32_e64 v4, v16, v18, s[46:47]                   // 0000000072AC: D1000004 00BA2510
	v_cmp_u_f32_e64 s[46:47], v89, v89                         // 0000000072B4: D048002E 0002B359
	v_add3_u32 v16, v89, v19, 1                                // 0000000072BC: D1FF0010 02062759
	v_cndmask_b32_e64 v5, v16, v18, s[46:47]                   // 0000000072C4: D1000005 00BA2510
	v_perm_b32 v70, v5, v4, s52                                // 0000000072CC: D1ED0046 00D20905
	v_cmp_u_f32_e64 s[46:47], v90, v90                         // 0000000072D4: D048002E 0002B55A
	v_add3_u32 v16, v90, v19, 1                                // 0000000072DC: D1FF0010 0206275A
	v_cndmask_b32_e64 v4, v16, v18, s[46:47]                   // 0000000072E4: D1000004 00BA2510
	v_cmp_u_f32_e64 s[46:47], v91, v91                         // 0000000072EC: D048002E 0002B75B
	v_add3_u32 v16, v91, v19, 1                                // 0000000072F4: D1FF0010 0206275B
	v_cndmask_b32_e64 v5, v16, v18, s[46:47]                   // 0000000072FC: D1000005 00BA2510
	v_perm_b32 v71, v5, v4, s52                                // 000000007304: D1ED0047 00D20905
	v_cmp_u_f32_e64 s[46:47], v92, v92                         // 00000000730C: D048002E 0002B95C
	v_add3_u32 v16, v92, v19, 1                                // 000000007314: D1FF0010 0206275C
	v_cndmask_b32_e64 v4, v16, v18, s[46:47]                   // 00000000731C: D1000004 00BA2510
	v_cmp_u_f32_e64 s[46:47], v93, v93                         // 000000007324: D048002E 0002BB5D
	v_add3_u32 v16, v93, v19, 1                                // 00000000732C: D1FF0010 0206275D
	v_cndmask_b32_e64 v5, v16, v18, s[46:47]                   // 000000007334: D1000005 00BA2510
	v_perm_b32 v72, v5, v4, s52                                // 00000000733C: D1ED0048 00D20905
	v_cmp_u_f32_e64 s[46:47], v94, v94                         // 000000007344: D048002E 0002BD5E
	v_add3_u32 v16, v94, v19, 1                                // 00000000734C: D1FF0010 0206275E
	v_cndmask_b32_e64 v4, v16, v18, s[46:47]                   // 000000007354: D1000004 00BA2510
	v_cmp_u_f32_e64 s[46:47], v95, v95                         // 00000000735C: D048002E 0002BF5F
	v_add3_u32 v16, v95, v19, 1                                // 000000007364: D1FF0010 0206275F
	v_cndmask_b32_e64 v5, v16, v18, s[46:47]                   // 00000000736C: D1000005 00BA2510
	v_perm_b32 v73, v5, v4, s52                                // 000000007374: D1ED0049 00D20905
	v_cmp_u_f32_e64 s[46:47], v96, v96                         // 00000000737C: D048002E 0002C160
	v_add3_u32 v16, v96, v19, 1                                // 000000007384: D1FF0010 02062760
	v_cndmask_b32_e64 v4, v16, v18, s[46:47]                   // 00000000738C: D1000004 00BA2510
	v_cmp_u_f32_e64 s[46:47], v97, v97                         // 000000007394: D048002E 0002C361
	v_add3_u32 v16, v97, v19, 1                                // 00000000739C: D1FF0010 02062761
	v_cndmask_b32_e64 v5, v16, v18, s[46:47]                   // 0000000073A4: D1000005 00BA2510
	v_perm_b32 v74, v5, v4, s52                                // 0000000073AC: D1ED004A 00D20905
	v_cmp_u_f32_e64 s[46:47], v98, v98                         // 0000000073B4: D048002E 0002C562
	v_add3_u32 v16, v98, v19, 1                                // 0000000073BC: D1FF0010 02062762
	v_cndmask_b32_e64 v4, v16, v18, s[46:47]                   // 0000000073C4: D1000004 00BA2510
	v_cmp_u_f32_e64 s[46:47], v99, v99                         // 0000000073CC: D048002E 0002C763
	v_add3_u32 v16, v99, v19, 1                                // 0000000073D4: D1FF0010 02062763
	v_cndmask_b32_e64 v5, v16, v18, s[46:47]                   // 0000000073DC: D1000005 00BA2510
	v_perm_b32 v75, v5, v4, s52                                // 0000000073E4: D1ED004B 00D20905
	v_cmp_u_f32_e64 s[46:47], v100, v100                       // 0000000073EC: D048002E 0002C964
	v_add3_u32 v16, v100, v19, 1                               // 0000000073F4: D1FF0010 02062764
	v_cndmask_b32_e64 v4, v16, v18, s[46:47]                   // 0000000073FC: D1000004 00BA2510
	v_cmp_u_f32_e64 s[46:47], v101, v101                       // 000000007404: D048002E 0002CB65
	v_add3_u32 v16, v101, v19, 1                               // 00000000740C: D1FF0010 02062765
	v_cndmask_b32_e64 v5, v16, v18, s[46:47]                   // 000000007414: D1000005 00BA2510
	v_perm_b32 v76, v5, v4, s52                                // 00000000741C: D1ED004C 00D20905
	v_cmp_u_f32_e64 s[46:47], v102, v102                       // 000000007424: D048002E 0002CD66
	v_add3_u32 v16, v102, v19, 1                               // 00000000742C: D1FF0010 02062766
	v_cndmask_b32_e64 v4, v16, v18, s[46:47]                   // 000000007434: D1000004 00BA2510
	v_cmp_u_f32_e64 s[46:47], v103, v103                       // 00000000743C: D048002E 0002CF67
	v_add3_u32 v16, v103, v19, 1                               // 000000007444: D1FF0010 02062767
	v_cndmask_b32_e64 v5, v16, v18, s[46:47]                   // 00000000744C: D1000005 00BA2510
	v_perm_b32 v77, v5, v4, s52                                // 000000007454: D1ED004D 00D20905
	v_cmp_u_f32_e64 s[46:47], v104, v104                       // 00000000745C: D048002E 0002D168
	v_add3_u32 v16, v104, v19, 1                               // 000000007464: D1FF0010 02062768
	v_cndmask_b32_e64 v4, v16, v18, s[46:47]                   // 00000000746C: D1000004 00BA2510
	v_cmp_u_f32_e64 s[46:47], v105, v105                       // 000000007474: D048002E 0002D369
	v_add3_u32 v16, v105, v19, 1                               // 00000000747C: D1FF0010 02062769
	v_cndmask_b32_e64 v5, v16, v18, s[46:47]                   // 000000007484: D1000005 00BA2510
	v_perm_b32 v78, v5, v4, s52                                // 00000000748C: D1ED004E 00D20905
	v_cmp_u_f32_e64 s[46:47], v106, v106                       // 000000007494: D048002E 0002D56A
	v_add3_u32 v16, v106, v19, 1                               // 00000000749C: D1FF0010 0206276A
	v_cndmask_b32_e64 v4, v16, v18, s[46:47]                   // 0000000074A4: D1000004 00BA2510
	v_cmp_u_f32_e64 s[46:47], v107, v107                       // 0000000074AC: D048002E 0002D76B
	v_add3_u32 v16, v107, v19, 1                               // 0000000074B4: D1FF0010 0206276B
	v_cndmask_b32_e64 v5, v16, v18, s[46:47]                   // 0000000074BC: D1000005 00BA2510
	v_perm_b32 v79, v5, v4, s52                                // 0000000074C4: D1ED004F 00D20905
	v_cmp_u_f32_e64 s[46:47], v108, v108                       // 0000000074CC: D048002E 0002D96C
	v_add3_u32 v16, v108, v19, 1                               // 0000000074D4: D1FF0010 0206276C
	v_cndmask_b32_e64 v4, v16, v18, s[46:47]                   // 0000000074DC: D1000004 00BA2510
	v_cmp_u_f32_e64 s[46:47], v109, v109                       // 0000000074E4: D048002E 0002DB6D
	v_add3_u32 v16, v109, v19, 1                               // 0000000074EC: D1FF0010 0206276D
	v_cndmask_b32_e64 v5, v16, v18, s[46:47]                   // 0000000074F4: D1000005 00BA2510
	v_perm_b32 v80, v5, v4, s52                                // 0000000074FC: D1ED0050 00D20905
	v_cmp_u_f32_e64 s[46:47], v110, v110                       // 000000007504: D048002E 0002DD6E
	v_add3_u32 v16, v110, v19, 1                               // 00000000750C: D1FF0010 0206276E
	v_cndmask_b32_e64 v4, v16, v18, s[46:47]                   // 000000007514: D1000004 00BA2510
	v_cmp_u_f32_e64 s[46:47], v111, v111                       // 00000000751C: D048002E 0002DF6F
	v_add3_u32 v16, v111, v19, 1                               // 000000007524: D1FF0010 0206276F
	v_cndmask_b32_e64 v5, v16, v18, s[46:47]                   // 00000000752C: D1000005 00BA2510
	v_perm_b32 v81, v5, v4, s52                                // 000000007534: D1ED0051 00D20905
	v_cmp_u_f32_e64 s[46:47], v112, v112                       // 00000000753C: D048002E 0002E170
	v_add3_u32 v16, v112, v19, 1                               // 000000007544: D1FF0010 02062770
	v_cndmask_b32_e64 v4, v16, v18, s[46:47]                   // 00000000754C: D1000004 00BA2510
	v_cmp_u_f32_e64 s[46:47], v113, v113                       // 000000007554: D048002E 0002E371
	v_add3_u32 v16, v113, v19, 1                               // 00000000755C: D1FF0010 02062771
	v_cndmask_b32_e64 v5, v16, v18, s[46:47]                   // 000000007564: D1000005 00BA2510
	v_perm_b32 v82, v5, v4, s52                                // 00000000756C: D1ED0052 00D20905
	v_cmp_u_f32_e64 s[46:47], v114, v114                       // 000000007574: D048002E 0002E572
	v_add3_u32 v16, v114, v19, 1                               // 00000000757C: D1FF0010 02062772
	v_cndmask_b32_e64 v4, v16, v18, s[46:47]                   // 000000007584: D1000004 00BA2510
	v_cmp_u_f32_e64 s[46:47], v115, v115                       // 00000000758C: D048002E 0002E773
	v_add3_u32 v16, v115, v19, 1                               // 000000007594: D1FF0010 02062773
	v_cndmask_b32_e64 v5, v16, v18, s[46:47]                   // 00000000759C: D1000005 00BA2510
	v_perm_b32 v83, v5, v4, s52                                // 0000000075A4: D1ED0053 00D20905
	ds_write_b64 v20, v[52:53]                                 // 0000000075AC: D89A0000 00003414
	ds_write_b64 v20, v[54:55] offset:17408                    // 0000000075B4: D89A4400 00003614
	ds_write_b64 v20, v[56:57] offset:2176                     // 0000000075BC: D89A0880 00003814
	ds_write_b64 v20, v[58:59] offset:19584                    // 0000000075C4: D89A4C80 00003A14
	ds_write_b64 v20, v[60:61] offset:4352                     // 0000000075CC: D89A1100 00003C14
	ds_write_b64 v20, v[62:63] offset:21760                    // 0000000075D4: D89A5500 00003E14
	ds_write_b64 v20, v[64:65] offset:6528                     // 0000000075DC: D89A1980 00004014
	ds_write_b64 v20, v[66:67] offset:23936                    // 0000000075E4: D89A5D80 00004214
	ds_write_b64 v20, v[68:69] offset:8704                     // 0000000075EC: D89A2200 00004414
	ds_write_b64 v20, v[70:71] offset:26112                    // 0000000075F4: D89A6600 00004614
	ds_write_b64 v20, v[72:73] offset:10880                    // 0000000075FC: D89A2A80 00004814
	ds_write_b64 v20, v[74:75] offset:28288                    // 000000007604: D89A6E80 00004A14
	ds_write_b64 v20, v[76:77] offset:13056                    // 00000000760C: D89A3300 00004C14
	ds_write_b64 v20, v[78:79] offset:30464                    // 000000007614: D89A7700 00004E14
	ds_write_b64 v20, v[80:81] offset:15232                    // 00000000761C: D89A3B80 00005014
	ds_write_b64 v20, v[82:83] offset:32640                    // 000000007624: D89A7F80 00005214
	v_lshrrev_b32_e32 v4, 5, v0                                // 00000000762C: 20080085
	v_xor_b32_e32 v5, 1, v4                                    // 000000007630: 2A0A0881
	s_mul_i32 s60, s65, 2                                      // 000000007634: 923C8241
	s_cmp_eq_u32 s88, 0                                        // 000000007638: BF068058
	s_cselect_b32 s61, 1, 4                                    // 00000000763C: 853D8481
	s_mul_i32 s60, s61, s60                                    // 000000007640: 923C3C3D
	v_readlane_b32 s82, v3, 0                                  // 000000007644: D2890052 00010103
	s_lshr_b32 s61, s82, 24                                    // 00000000764C: 8F3D9852
	s_and_b32 s82, s82, 0xffffff                               // 000000007650: 8652FF52 00FFFFFF
	s_mul_i32 s82, s82, s71                                    // 000000007658: 92524752
	s_mul_i32 s61, s60, s61                                    // 00000000765C: 923D3D3C
	s_add_u32 s82, s82, s61                                    // 000000007660: 80523D52
	v_mul_lo_u32 v6, v5, s82                                   // 000000007664: D2850006 0000A505
	v_readlane_b32 s82, v3, 1                                  // 00000000766C: D2890052 00010303
	s_lshr_b32 s61, s82, 24                                    // 000000007674: 8F3D9852
	s_and_b32 s82, s82, 0xffffff                               // 000000007678: 8652FF52 00FFFFFF
	s_mul_i32 s82, s82, s71                                    // 000000007680: 92524752
	s_mul_i32 s61, s60, s61                                    // 000000007684: 923D3D3C
	s_add_u32 s82, s82, s61                                    // 000000007688: 80523D52
	v_mul_lo_u32 v7, v4, s82                                   // 00000000768C: D2850007 0000A504
	v_add_u32_e32 v39, v6, v7                                  // 000000007694: 684E0F06
	v_readlane_b32 s82, v3, 2                                  // 000000007698: D2890052 00010503
	s_lshr_b32 s61, s82, 24                                    // 0000000076A0: 8F3D9852
	s_and_b32 s82, s82, 0xffffff                               // 0000000076A4: 8652FF52 00FFFFFF
	s_mul_i32 s82, s82, s71                                    // 0000000076AC: 92524752
	s_mul_i32 s61, s60, s61                                    // 0000000076B0: 923D3D3C
	s_add_u32 s82, s82, s61                                    // 0000000076B4: 80523D52
	v_mul_lo_u32 v6, v5, s82                                   // 0000000076B8: D2850006 0000A505
	v_readlane_b32 s82, v3, 3                                  // 0000000076C0: D2890052 00010703
	s_lshr_b32 s61, s82, 24                                    // 0000000076C8: 8F3D9852
	s_and_b32 s82, s82, 0xffffff                               // 0000000076CC: 8652FF52 00FFFFFF
	s_mul_i32 s82, s82, s71                                    // 0000000076D4: 92524752
	s_mul_i32 s61, s60, s61                                    // 0000000076D8: 923D3D3C
	s_add_u32 s82, s82, s61                                    // 0000000076DC: 80523D52
	v_mul_lo_u32 v7, v4, s82                                   // 0000000076E0: D2850007 0000A504
	v_add_u32_e32 v40, v6, v7                                  // 0000000076E8: 68500F06
	v_readlane_b32 s82, v3, 4                                  // 0000000076EC: D2890052 00010903
	s_lshr_b32 s61, s82, 24                                    // 0000000076F4: 8F3D9852
	s_and_b32 s82, s82, 0xffffff                               // 0000000076F8: 8652FF52 00FFFFFF
	s_mul_i32 s82, s82, s71                                    // 000000007700: 92524752
	s_mul_i32 s61, s60, s61                                    // 000000007704: 923D3D3C
	s_add_u32 s82, s82, s61                                    // 000000007708: 80523D52
	v_mul_lo_u32 v6, v5, s82                                   // 00000000770C: D2850006 0000A505
	v_readlane_b32 s82, v3, 5                                  // 000000007714: D2890052 00010B03
	s_lshr_b32 s61, s82, 24                                    // 00000000771C: 8F3D9852
	s_and_b32 s82, s82, 0xffffff                               // 000000007720: 8652FF52 00FFFFFF
	s_mul_i32 s82, s82, s71                                    // 000000007728: 92524752
	s_mul_i32 s61, s60, s61                                    // 00000000772C: 923D3D3C
	s_add_u32 s82, s82, s61                                    // 000000007730: 80523D52
	v_mul_lo_u32 v7, v4, s82                                   // 000000007734: D2850007 0000A504
	v_add_u32_e32 v41, v6, v7                                  // 00000000773C: 68520F06
	v_readlane_b32 s82, v3, 6                                  // 000000007740: D2890052 00010D03
	s_lshr_b32 s61, s82, 24                                    // 000000007748: 8F3D9852
	s_and_b32 s82, s82, 0xffffff                               // 00000000774C: 8652FF52 00FFFFFF
	s_mul_i32 s82, s82, s71                                    // 000000007754: 92524752
	s_mul_i32 s61, s60, s61                                    // 000000007758: 923D3D3C
	s_add_u32 s82, s82, s61                                    // 00000000775C: 80523D52
	v_mul_lo_u32 v6, v5, s82                                   // 000000007760: D2850006 0000A505
	v_readlane_b32 s82, v3, 7                                  // 000000007768: D2890052 00010F03
	s_lshr_b32 s61, s82, 24                                    // 000000007770: 8F3D9852
	s_and_b32 s82, s82, 0xffffff                               // 000000007774: 8652FF52 00FFFFFF
	s_mul_i32 s82, s82, s71                                    // 00000000777C: 92524752
	s_mul_i32 s61, s60, s61                                    // 000000007780: 923D3D3C
	s_add_u32 s82, s82, s61                                    // 000000007784: 80523D52
	v_mul_lo_u32 v7, v4, s82                                   // 000000007788: D2850007 0000A504
	v_add_u32_e32 v42, v6, v7                                  // 000000007790: 68540F06
	v_and_b32_e32 v4, 31, v0                                   // 000000007794: 2608009F
	v_lshrrev_b32_e32 v4, 1, v4                                // 000000007798: 20080881
	s_cmp_eq_u32 s88, 0                                        // 00000000779C: BF068058
	s_cselect_b32 s61, 2, 4                                    // 0000000077A0: 853D8482
	v_mul_lo_u32 v4, v4, s61                                   // 0000000077A4: D2850004 00007B04
	v_and_b32_e64 v5, v0, 1                                    // 0000000077AC: D1130005 00010300
	v_add_u32_e32 v4, v4, v5                                   // 0000000077B4: 68080B04
	v_lshlrev_b32_e32 v4, 2, v4                                // 0000000077B8: 24080882
	v_add_u32_e32 v39, v39, v4                                 // 0000000077BC: 684E0927
	v_add_u32_e32 v40, v40, v4                                 // 0000000077C0: 68500928
	v_add_u32_e32 v41, v41, v4                                 // 0000000077C4: 68520929
	v_add_u32_e32 v42, v42, v4                                 // 0000000077C8: 6854092A
	s_waitcnt lgkmcnt(0)                                       // 0000000077CC: BF8CC07F
	s_barrier                                                  // 0000000077D0: BF8A0000
	ds_read_b32 v52, v21                                       // 0000000077D4: D86C0000 34000015
	ds_read_b32 v53, v21 offset:64                             // 0000000077DC: D86C0040 35000015
	ds_read_b32 v54, v21 offset:2176                           // 0000000077E4: D86C0880 36000015
	ds_read_b32 v55, v21 offset:2240                           // 0000000077EC: D86C08C0 37000015
	ds_read_b32 v56, v21 offset:4352                           // 0000000077F4: D86C1100 38000015
	ds_read_b32 v57, v21 offset:4416                           // 0000000077FC: D86C1140 39000015
	ds_read_b32 v58, v21 offset:6528                           // 000000007804: D86C1980 3A000015
	ds_read_b32 v59, v21 offset:6592                           // 00000000780C: D86C19C0 3B000015
	ds_read_b32 v60, v21 offset:8704                           // 000000007814: D86C2200 3C000015
	ds_read_b32 v61, v21 offset:8768                           // 00000000781C: D86C2240 3D000015
	ds_read_b32 v62, v21 offset:10880                          // 000000007824: D86C2A80 3E000015
	ds_read_b32 v63, v21 offset:10944                          // 00000000782C: D86C2AC0 3F000015
	ds_read_b32 v64, v21 offset:13056                          // 000000007834: D86C3300 40000015
	ds_read_b32 v65, v21 offset:13120                          // 00000000783C: D86C3340 41000015
	ds_read_b32 v66, v21 offset:15232                          // 000000007844: D86C3B80 42000015
	ds_read_b32 v67, v21 offset:15296                          // 00000000784C: D86C3BC0 43000015
	ds_read_b32 v68, v21 offset:17408                          // 000000007854: D86C4400 44000015
	ds_read_b32 v69, v21 offset:17472                          // 00000000785C: D86C4440 45000015
	ds_read_b32 v70, v21 offset:19584                          // 000000007864: D86C4C80 46000015
	ds_read_b32 v71, v21 offset:19648                          // 00000000786C: D86C4CC0 47000015
	ds_read_b32 v72, v21 offset:21760                          // 000000007874: D86C5500 48000015
	ds_read_b32 v73, v21 offset:21824                          // 00000000787C: D86C5540 49000015
	ds_read_b32 v74, v21 offset:23936                          // 000000007884: D86C5D80 4A000015
	ds_read_b32 v75, v21 offset:24000                          // 00000000788C: D86C5DC0 4B000015
	ds_read_b32 v76, v21 offset:26112                          // 000000007894: D86C6600 4C000015
	ds_read_b32 v77, v21 offset:26176                          // 00000000789C: D86C6640 4D000015
	ds_read_b32 v78, v21 offset:28288                          // 0000000078A4: D86C6E80 4E000015
	ds_read_b32 v79, v21 offset:28352                          // 0000000078AC: D86C6EC0 4F000015
	ds_read_b32 v80, v21 offset:30464                          // 0000000078B4: D86C7700 50000015
	ds_read_b32 v81, v21 offset:30528                          // 0000000078BC: D86C7740 51000015
	ds_read_b32 v82, v21 offset:32640                          // 0000000078C4: D86C7F80 52000015
	ds_read_b32 v83, v21 offset:32704                          // 0000000078CC: D86C7FC0 53000015
	s_waitcnt lgkmcnt(0)                                       // 0000000078D4: BF8CC07F
	s_mov_b32 s36, -1                                          // 0000000078D8: BEA400C1
	s_mov_b32 s37, -1                                          // 0000000078DC: BEA500C1
	v_mov_b32_e32 v7, 0                                        // 0000000078E0: 7E0E0280
	s_or_b32 s9, s9, 0x40000                                   // 0000000078E4: 8709FF09 00040000
	s_mov_b64 exec, s[36:37]                                   // 0000000078EC: BEFE0124
	v_mov_b32_e32 v6, v39                                      // 0000000078F0: 7E0C0327
	s_mov_b64 s[60:61], 0                                      // 0000000078F4: BEBC0180
	v_readlane_b32 s82, v3, 0                                  // 0000000078F8: D2890052 00010103
	s_and_b32 s82, s82, 0xffffff                               // 000000007900: 8652FF52 00FFFFFF
	s_cmp_lt_u32 s82, s66                                      // 000000007908: BF0A4252
	s_cselect_b32 s20, s36, s60                                // 00000000790C: 85143C24
	v_readlane_b32 s82, v3, 1                                  // 000000007910: D2890052 00010303
	s_and_b32 s82, s82, 0xffffff                               // 000000007918: 8652FF52 00FFFFFF
	s_cmp_lt_u32 s82, s66                                      // 000000007920: BF0A4252
	s_cselect_b32 s21, s36, s60                                // 000000007924: 85153C24
	s_mov_b64 exec, s[20:21]                                   // 000000007928: BEFE0114
	buffer_store_dword v52, v6, s[8:11], 0 offen               // 00000000792C: E0701000 80023406
	buffer_store_dword v54, v6, s[8:11], 0 offen offset:128    // 000000007934: E0701080 80023606
	buffer_store_dword v56, v6, s[8:11], 0 offen offset:256    // 00000000793C: E0701100 80023806
	buffer_store_dword v58, v6, s[8:11], 0 offen offset:384    // 000000007944: E0701180 80023A06
	buffer_store_dword v60, v6, s[8:11], 0 offen offset:512    // 00000000794C: E0701200 80023C06
	buffer_store_dword v62, v6, s[8:11], 0 offen offset:640    // 000000007954: E0701280 80023E06
	buffer_store_dword v64, v6, s[8:11], 0 offen offset:768    // 00000000795C: E0701300 80024006
	buffer_store_dword v66, v6, s[8:11], 0 offen offset:896    // 000000007964: E0701380 80024206
	s_mov_b64 exec, s[36:37]                                   // 00000000796C: BEFE0124
	v_mov_b32_e32 v6, v40                                      // 000000007970: 7E0C0328
	s_mov_b64 s[60:61], 0                                      // 000000007974: BEBC0180
	v_readlane_b32 s82, v3, 2                                  // 000000007978: D2890052 00010503
	s_and_b32 s82, s82, 0xffffff                               // 000000007980: 8652FF52 00FFFFFF
	s_cmp_lt_u32 s82, s66                                      // 000000007988: BF0A4252
	s_cselect_b32 s20, s36, s60                                // 00000000798C: 85143C24
	v_readlane_b32 s82, v3, 3                                  // 000000007990: D2890052 00010703
	s_and_b32 s82, s82, 0xffffff                               // 000000007998: 8652FF52 00FFFFFF
	s_cmp_lt_u32 s82, s66                                      // 0000000079A0: BF0A4252
	s_cselect_b32 s21, s36, s60                                // 0000000079A4: 85153C24
	s_mov_b64 exec, s[20:21]                                   // 0000000079A8: BEFE0114
	buffer_store_dword v53, v6, s[8:11], 0 offen               // 0000000079AC: E0701000 80023506
	buffer_store_dword v55, v6, s[8:11], 0 offen offset:128    // 0000000079B4: E0701080 80023706
	buffer_store_dword v57, v6, s[8:11], 0 offen offset:256    // 0000000079BC: E0701100 80023906
	buffer_store_dword v59, v6, s[8:11], 0 offen offset:384    // 0000000079C4: E0701180 80023B06
	buffer_store_dword v61, v6, s[8:11], 0 offen offset:512    // 0000000079CC: E0701200 80023D06
	buffer_store_dword v63, v6, s[8:11], 0 offen offset:640    // 0000000079D4: E0701280 80023F06
	buffer_store_dword v65, v6, s[8:11], 0 offen offset:768    // 0000000079DC: E0701300 80024106
	buffer_store_dword v67, v6, s[8:11], 0 offen offset:896    // 0000000079E4: E0701380 80024306
	s_mov_b64 exec, s[36:37]                                   // 0000000079EC: BEFE0124
	v_mov_b32_e32 v6, v41                                      // 0000000079F0: 7E0C0329
	s_mov_b64 s[60:61], 0                                      // 0000000079F4: BEBC0180
	v_readlane_b32 s82, v3, 4                                  // 0000000079F8: D2890052 00010903
	s_and_b32 s82, s82, 0xffffff                               // 000000007A00: 8652FF52 00FFFFFF
	s_cmp_lt_u32 s82, s66                                      // 000000007A08: BF0A4252
	s_cselect_b32 s20, s36, s60                                // 000000007A0C: 85143C24
	v_readlane_b32 s82, v3, 5                                  // 000000007A10: D2890052 00010B03
	s_and_b32 s82, s82, 0xffffff                               // 000000007A18: 8652FF52 00FFFFFF
	s_cmp_lt_u32 s82, s66                                      // 000000007A20: BF0A4252
	s_cselect_b32 s21, s36, s60                                // 000000007A24: 85153C24
	s_mov_b64 exec, s[20:21]                                   // 000000007A28: BEFE0114
	buffer_store_dword v68, v6, s[8:11], 0 offen               // 000000007A2C: E0701000 80024406
	buffer_store_dword v70, v6, s[8:11], 0 offen offset:128    // 000000007A34: E0701080 80024606
	buffer_store_dword v72, v6, s[8:11], 0 offen offset:256    // 000000007A3C: E0701100 80024806
	buffer_store_dword v74, v6, s[8:11], 0 offen offset:384    // 000000007A44: E0701180 80024A06
	buffer_store_dword v76, v6, s[8:11], 0 offen offset:512    // 000000007A4C: E0701200 80024C06
	buffer_store_dword v78, v6, s[8:11], 0 offen offset:640    // 000000007A54: E0701280 80024E06
	buffer_store_dword v80, v6, s[8:11], 0 offen offset:768    // 000000007A5C: E0701300 80025006
	buffer_store_dword v82, v6, s[8:11], 0 offen offset:896    // 000000007A64: E0701380 80025206
	s_mov_b64 exec, s[36:37]                                   // 000000007A6C: BEFE0124
	v_mov_b32_e32 v6, v42                                      // 000000007A70: 7E0C032A
	s_mov_b64 s[60:61], 0                                      // 000000007A74: BEBC0180
	v_readlane_b32 s82, v3, 6                                  // 000000007A78: D2890052 00010D03
	s_and_b32 s82, s82, 0xffffff                               // 000000007A80: 8652FF52 00FFFFFF
	s_cmp_lt_u32 s82, s66                                      // 000000007A88: BF0A4252
	s_cselect_b32 s20, s36, s60                                // 000000007A8C: 85143C24
	v_readlane_b32 s82, v3, 7                                  // 000000007A90: D2890052 00010F03
	s_and_b32 s82, s82, 0xffffff                               // 000000007A98: 8652FF52 00FFFFFF
	s_cmp_lt_u32 s82, s66                                      // 000000007AA0: BF0A4252
	s_cselect_b32 s21, s36, s60                                // 000000007AA4: 85153C24
	s_mov_b64 exec, s[20:21]                                   // 000000007AA8: BEFE0114
	buffer_store_dword v69, v6, s[8:11], 0 offen               // 000000007AAC: E0701000 80024506
	buffer_store_dword v71, v6, s[8:11], 0 offen offset:128    // 000000007AB4: E0701080 80024706
	buffer_store_dword v73, v6, s[8:11], 0 offen offset:256    // 000000007ABC: E0701100 80024906
	buffer_store_dword v75, v6, s[8:11], 0 offen offset:384    // 000000007AC4: E0701180 80024B06
	buffer_store_dword v77, v6, s[8:11], 0 offen offset:512    // 000000007ACC: E0701200 80024D06
	buffer_store_dword v79, v6, s[8:11], 0 offen offset:640    // 000000007AD4: E0701280 80024F06
	buffer_store_dword v81, v6, s[8:11], 0 offen offset:768    // 000000007ADC: E0701300 80025106
	buffer_store_dword v83, v6, s[8:11], 0 offen offset:896    // 000000007AE4: E0701380 80025306
	s_mov_b64 exec, s[36:37]                                   // 000000007AEC: BEFE0124
	s_branch label_2E00                                        // 000000007AF0: BF8219C0

0000000000007af4 <label_143D>:
	ds_write_b64 v20, v[52:53]                                 // 000000007AF4: D89A0000 00003414
	ds_write_b64 v20, v[56:57] offset:17408                    // 000000007AFC: D89A4400 00003814
	ds_write_b64 v20, v[60:61] offset:2176                     // 000000007B04: D89A0880 00003C14
	ds_write_b64 v20, v[64:65] offset:19584                    // 000000007B0C: D89A4C80 00004014
	ds_write_b64 v20, v[68:69] offset:4352                     // 000000007B14: D89A1100 00004414
	ds_write_b64 v20, v[72:73] offset:21760                    // 000000007B1C: D89A5500 00004814
	ds_write_b64 v20, v[76:77] offset:6528                     // 000000007B24: D89A1980 00004C14
	ds_write_b64 v20, v[80:81] offset:23936                    // 000000007B2C: D89A5D80 00005014
	ds_write_b64 v20, v[84:85] offset:8704                     // 000000007B34: D89A2200 00005414
	ds_write_b64 v20, v[88:89] offset:26112                    // 000000007B3C: D89A6600 00005814
	ds_write_b64 v20, v[92:93] offset:10880                    // 000000007B44: D89A2A80 00005C14
	ds_write_b64 v20, v[96:97] offset:28288                    // 000000007B4C: D89A6E80 00006014
	ds_write_b64 v20, v[100:101] offset:13056                  // 000000007B54: D89A3300 00006414
	ds_write_b64 v20, v[104:105] offset:30464                  // 000000007B5C: D89A7700 00006814
	ds_write_b64 v20, v[108:109] offset:15232                  // 000000007B64: D89A3B80 00006C14
	ds_write_b64 v20, v[112:113] offset:32640                  // 000000007B6C: D89A7F80 00007014
	v_lshrrev_b32_e32 v4, 5, v0                                // 000000007B74: 20080085
	v_xor_b32_e32 v5, 1, v4                                    // 000000007B78: 2A0A0881
	s_mul_i32 s60, s65, 2                                      // 000000007B7C: 923C8241
	s_cmp_eq_u32 s88, 0                                        // 000000007B80: BF068058
	s_cselect_b32 s61, 1, 4                                    // 000000007B84: 853D8481
	s_mul_i32 s60, s61, s60                                    // 000000007B88: 923C3C3D
	v_readlane_b32 s82, v3, 0                                  // 000000007B8C: D2890052 00010103
	s_lshr_b32 s61, s82, 24                                    // 000000007B94: 8F3D9852
	s_and_b32 s82, s82, 0xffffff                               // 000000007B98: 8652FF52 00FFFFFF
	s_mul_i32 s82, s82, s71                                    // 000000007BA0: 92524752
	s_mul_i32 s61, s60, s61                                    // 000000007BA4: 923D3D3C
	s_add_u32 s82, s82, s61                                    // 000000007BA8: 80523D52
	v_mul_lo_u32 v6, v5, s82                                   // 000000007BAC: D2850006 0000A505
	v_readlane_b32 s82, v3, 1                                  // 000000007BB4: D2890052 00010303
	s_lshr_b32 s61, s82, 24                                    // 000000007BBC: 8F3D9852
	s_and_b32 s82, s82, 0xffffff                               // 000000007BC0: 8652FF52 00FFFFFF
	s_mul_i32 s82, s82, s71                                    // 000000007BC8: 92524752
	s_mul_i32 s61, s60, s61                                    // 000000007BCC: 923D3D3C
	s_add_u32 s82, s82, s61                                    // 000000007BD0: 80523D52
	v_mul_lo_u32 v7, v4, s82                                   // 000000007BD4: D2850007 0000A504
	v_add_u32_e32 v39, v6, v7                                  // 000000007BDC: 684E0F06
	v_readlane_b32 s82, v3, 2                                  // 000000007BE0: D2890052 00010503
	s_lshr_b32 s61, s82, 24                                    // 000000007BE8: 8F3D9852
	s_and_b32 s82, s82, 0xffffff                               // 000000007BEC: 8652FF52 00FFFFFF
	s_mul_i32 s82, s82, s71                                    // 000000007BF4: 92524752
	s_mul_i32 s61, s60, s61                                    // 000000007BF8: 923D3D3C
	s_add_u32 s82, s82, s61                                    // 000000007BFC: 80523D52
	v_mul_lo_u32 v6, v5, s82                                   // 000000007C00: D2850006 0000A505
	v_readlane_b32 s82, v3, 3                                  // 000000007C08: D2890052 00010703
	s_lshr_b32 s61, s82, 24                                    // 000000007C10: 8F3D9852
	s_and_b32 s82, s82, 0xffffff                               // 000000007C14: 8652FF52 00FFFFFF
	s_mul_i32 s82, s82, s71                                    // 000000007C1C: 92524752
	s_mul_i32 s61, s60, s61                                    // 000000007C20: 923D3D3C
	s_add_u32 s82, s82, s61                                    // 000000007C24: 80523D52
	v_mul_lo_u32 v7, v4, s82                                   // 000000007C28: D2850007 0000A504
	v_add_u32_e32 v40, v6, v7                                  // 000000007C30: 68500F06
	v_readlane_b32 s82, v3, 4                                  // 000000007C34: D2890052 00010903
	s_lshr_b32 s61, s82, 24                                    // 000000007C3C: 8F3D9852
	s_and_b32 s82, s82, 0xffffff                               // 000000007C40: 8652FF52 00FFFFFF
	s_mul_i32 s82, s82, s71                                    // 000000007C48: 92524752
	s_mul_i32 s61, s60, s61                                    // 000000007C4C: 923D3D3C
	s_add_u32 s82, s82, s61                                    // 000000007C50: 80523D52
	v_mul_lo_u32 v6, v5, s82                                   // 000000007C54: D2850006 0000A505
	v_readlane_b32 s82, v3, 5                                  // 000000007C5C: D2890052 00010B03
	s_lshr_b32 s61, s82, 24                                    // 000000007C64: 8F3D9852
	s_and_b32 s82, s82, 0xffffff                               // 000000007C68: 8652FF52 00FFFFFF
	s_mul_i32 s82, s82, s71                                    // 000000007C70: 92524752
	s_mul_i32 s61, s60, s61                                    // 000000007C74: 923D3D3C
	s_add_u32 s82, s82, s61                                    // 000000007C78: 80523D52
	v_mul_lo_u32 v7, v4, s82                                   // 000000007C7C: D2850007 0000A504
	v_add_u32_e32 v41, v6, v7                                  // 000000007C84: 68520F06
	v_readlane_b32 s82, v3, 6                                  // 000000007C88: D2890052 00010D03
	s_lshr_b32 s61, s82, 24                                    // 000000007C90: 8F3D9852
	s_and_b32 s82, s82, 0xffffff                               // 000000007C94: 8652FF52 00FFFFFF
	s_mul_i32 s82, s82, s71                                    // 000000007C9C: 92524752
	s_mul_i32 s61, s60, s61                                    // 000000007CA0: 923D3D3C
	s_add_u32 s82, s82, s61                                    // 000000007CA4: 80523D52
	v_mul_lo_u32 v6, v5, s82                                   // 000000007CA8: D2850006 0000A505
	v_readlane_b32 s82, v3, 7                                  // 000000007CB0: D2890052 00010F03
	s_lshr_b32 s61, s82, 24                                    // 000000007CB8: 8F3D9852
	s_and_b32 s82, s82, 0xffffff                               // 000000007CBC: 8652FF52 00FFFFFF
	s_mul_i32 s82, s82, s71                                    // 000000007CC4: 92524752
	s_mul_i32 s61, s60, s61                                    // 000000007CC8: 923D3D3C
	s_add_u32 s82, s82, s61                                    // 000000007CCC: 80523D52
	v_mul_lo_u32 v7, v4, s82                                   // 000000007CD0: D2850007 0000A504
	v_add_u32_e32 v42, v6, v7                                  // 000000007CD8: 68540F06
	v_and_b32_e32 v4, 31, v0                                   // 000000007CDC: 2608009F
	v_lshrrev_b32_e32 v4, 1, v4                                // 000000007CE0: 20080881
	s_cmp_eq_u32 s88, 0                                        // 000000007CE4: BF068058
	s_cselect_b32 s61, 2, 4                                    // 000000007CE8: 853D8482
	v_mul_lo_u32 v4, v4, s61                                   // 000000007CEC: D2850004 00007B04
	v_and_b32_e64 v5, v0, 1                                    // 000000007CF4: D1130005 00010300
	v_add_u32_e32 v4, v4, v5                                   // 000000007CFC: 68080B04
	v_lshlrev_b32_e32 v4, 2, v4                                // 000000007D00: 24080882
	v_add_u32_e32 v39, v39, v4                                 // 000000007D04: 684E0927
	v_add_u32_e32 v40, v40, v4                                 // 000000007D08: 68500928
	v_add_u32_e32 v41, v41, v4                                 // 000000007D0C: 68520929
	v_add_u32_e32 v42, v42, v4                                 // 000000007D10: 6854092A
	s_waitcnt lgkmcnt(0)                                       // 000000007D14: BF8CC07F
	s_barrier                                                  // 000000007D18: BF8A0000
	ds_read_b32 v52, v21                                       // 000000007D1C: D86C0000 34000015
	ds_read_b32 v53, v21 offset:64                             // 000000007D24: D86C0040 35000015
	ds_read_b32 v56, v21 offset:2176                           // 000000007D2C: D86C0880 38000015
	ds_read_b32 v57, v21 offset:2240                           // 000000007D34: D86C08C0 39000015
	ds_read_b32 v60, v21 offset:4352                           // 000000007D3C: D86C1100 3C000015
	ds_read_b32 v61, v21 offset:4416                           // 000000007D44: D86C1140 3D000015
	ds_read_b32 v64, v21 offset:6528                           // 000000007D4C: D86C1980 40000015
	ds_read_b32 v65, v21 offset:6592                           // 000000007D54: D86C19C0 41000015
	ds_read_b32 v68, v21 offset:8704                           // 000000007D5C: D86C2200 44000015
	ds_read_b32 v69, v21 offset:8768                           // 000000007D64: D86C2240 45000015
	ds_read_b32 v72, v21 offset:10880                          // 000000007D6C: D86C2A80 48000015
	ds_read_b32 v73, v21 offset:10944                          // 000000007D74: D86C2AC0 49000015
	ds_read_b32 v76, v21 offset:13056                          // 000000007D7C: D86C3300 4C000015
	ds_read_b32 v77, v21 offset:13120                          // 000000007D84: D86C3340 4D000015
	ds_read_b32 v80, v21 offset:15232                          // 000000007D8C: D86C3B80 50000015
	ds_read_b32 v81, v21 offset:15296                          // 000000007D94: D86C3BC0 51000015
	ds_read_b32 v84, v21 offset:17408                          // 000000007D9C: D86C4400 54000015
	ds_read_b32 v85, v21 offset:17472                          // 000000007DA4: D86C4440 55000015
	ds_read_b32 v88, v21 offset:19584                          // 000000007DAC: D86C4C80 58000015
	ds_read_b32 v89, v21 offset:19648                          // 000000007DB4: D86C4CC0 59000015
	ds_read_b32 v92, v21 offset:21760                          // 000000007DBC: D86C5500 5C000015
	ds_read_b32 v93, v21 offset:21824                          // 000000007DC4: D86C5540 5D000015
	ds_read_b32 v96, v21 offset:23936                          // 000000007DCC: D86C5D80 60000015
	ds_read_b32 v97, v21 offset:24000                          // 000000007DD4: D86C5DC0 61000015
	ds_read_b32 v100, v21 offset:26112                         // 000000007DDC: D86C6600 64000015
	ds_read_b32 v101, v21 offset:26176                         // 000000007DE4: D86C6640 65000015
	ds_read_b32 v104, v21 offset:28288                         // 000000007DEC: D86C6E80 68000015
	ds_read_b32 v105, v21 offset:28352                         // 000000007DF4: D86C6EC0 69000015
	ds_read_b32 v108, v21 offset:30464                         // 000000007DFC: D86C7700 6C000015
	ds_read_b32 v109, v21 offset:30528                         // 000000007E04: D86C7740 6D000015
	ds_read_b32 v112, v21 offset:32640                         // 000000007E0C: D86C7F80 70000015
	ds_read_b32 v113, v21 offset:32704                         // 000000007E14: D86C7FC0 71000015
	s_waitcnt lgkmcnt(0)                                       // 000000007E1C: BF8CC07F
	s_mov_b32 s36, -1                                          // 000000007E20: BEA400C1
	s_mov_b32 s37, -1                                          // 000000007E24: BEA500C1
	v_mov_b32_e32 v7, 0                                        // 000000007E28: 7E0E0280
	s_mov_b64 exec, s[36:37]                                   // 000000007E2C: BEFE0124
	v_mov_b32_e32 v6, v39                                      // 000000007E30: 7E0C0327
	s_mov_b64 s[60:61], 0                                      // 000000007E34: BEBC0180
	v_readlane_b32 s82, v3, 0                                  // 000000007E38: D2890052 00010103
	s_and_b32 s82, s82, 0xffffff                               // 000000007E40: 8652FF52 00FFFFFF
	s_cmp_lt_u32 s82, s66                                      // 000000007E48: BF0A4252
	s_cselect_b32 s20, s36, s60                                // 000000007E4C: 85143C24
	v_readlane_b32 s82, v3, 1                                  // 000000007E50: D2890052 00010303
	s_and_b32 s82, s82, 0xffffff                               // 000000007E58: 8652FF52 00FFFFFF
	s_cmp_lt_u32 s82, s66                                      // 000000007E60: BF0A4252
	s_cselect_b32 s21, s36, s60                                // 000000007E64: 85153C24
	s_mov_b64 exec, s[20:21]                                   // 000000007E68: BEFE0114
	global_atomic_add_f32 v6, v52, s[8:9]                      // 000000007E6C: DD348000 00083406
	global_atomic_add_f32 v6, v56, s[8:9] offset:256           // 000000007E74: DD348100 00083806
	global_atomic_add_f32 v6, v60, s[8:9] offset:512           // 000000007E7C: DD348200 00083C06
	global_atomic_add_f32 v6, v64, s[8:9] offset:768           // 000000007E84: DD348300 00084006
	global_atomic_add_f32 v6, v68, s[8:9] offset:1024          // 000000007E8C: DD348400 00084406
	global_atomic_add_f32 v6, v72, s[8:9] offset:1280          // 000000007E94: DD348500 00084806
	global_atomic_add_f32 v6, v76, s[8:9] offset:1536          // 000000007E9C: DD348600 00084C06
	global_atomic_add_f32 v6, v80, s[8:9] offset:1792          // 000000007EA4: DD348700 00085006
	s_mov_b64 exec, s[36:37]                                   // 000000007EAC: BEFE0124
	v_mov_b32_e32 v6, v40                                      // 000000007EB0: 7E0C0328
	s_mov_b64 s[60:61], 0                                      // 000000007EB4: BEBC0180
	v_readlane_b32 s82, v3, 2                                  // 000000007EB8: D2890052 00010503
	s_and_b32 s82, s82, 0xffffff                               // 000000007EC0: 8652FF52 00FFFFFF
	s_cmp_lt_u32 s82, s66                                      // 000000007EC8: BF0A4252
	s_cselect_b32 s20, s36, s60                                // 000000007ECC: 85143C24
	v_readlane_b32 s82, v3, 3                                  // 000000007ED0: D2890052 00010703
	s_and_b32 s82, s82, 0xffffff                               // 000000007ED8: 8652FF52 00FFFFFF
	s_cmp_lt_u32 s82, s66                                      // 000000007EE0: BF0A4252
	s_cselect_b32 s21, s36, s60                                // 000000007EE4: 85153C24
	s_mov_b64 exec, s[20:21]                                   // 000000007EE8: BEFE0114
	global_atomic_add_f32 v6, v53, s[8:9]                      // 000000007EEC: DD348000 00083506
	global_atomic_add_f32 v6, v57, s[8:9] offset:256           // 000000007EF4: DD348100 00083906
	global_atomic_add_f32 v6, v61, s[8:9] offset:512           // 000000007EFC: DD348200 00083D06
	global_atomic_add_f32 v6, v65, s[8:9] offset:768           // 000000007F04: DD348300 00084106
	global_atomic_add_f32 v6, v69, s[8:9] offset:1024          // 000000007F0C: DD348400 00084506
	global_atomic_add_f32 v6, v73, s[8:9] offset:1280          // 000000007F14: DD348500 00084906
	global_atomic_add_f32 v6, v77, s[8:9] offset:1536          // 000000007F1C: DD348600 00084D06
	global_atomic_add_f32 v6, v81, s[8:9] offset:1792          // 000000007F24: DD348700 00085106
	s_mov_b64 exec, s[36:37]                                   // 000000007F2C: BEFE0124
	v_mov_b32_e32 v6, v41                                      // 000000007F30: 7E0C0329
	s_mov_b64 s[60:61], 0                                      // 000000007F34: BEBC0180
	v_readlane_b32 s82, v3, 4                                  // 000000007F38: D2890052 00010903
	s_and_b32 s82, s82, 0xffffff                               // 000000007F40: 8652FF52 00FFFFFF
	s_cmp_lt_u32 s82, s66                                      // 000000007F48: BF0A4252
	s_cselect_b32 s20, s36, s60                                // 000000007F4C: 85143C24
	v_readlane_b32 s82, v3, 5                                  // 000000007F50: D2890052 00010B03
	s_and_b32 s82, s82, 0xffffff                               // 000000007F58: 8652FF52 00FFFFFF
	s_cmp_lt_u32 s82, s66                                      // 000000007F60: BF0A4252
	s_cselect_b32 s21, s36, s60                                // 000000007F64: 85153C24
	s_mov_b64 exec, s[20:21]                                   // 000000007F68: BEFE0114
	global_atomic_add_f32 v6, v84, s[8:9]                      // 000000007F6C: DD348000 00085406
	global_atomic_add_f32 v6, v88, s[8:9] offset:256           // 000000007F74: DD348100 00085806
	global_atomic_add_f32 v6, v92, s[8:9] offset:512           // 000000007F7C: DD348200 00085C06
	global_atomic_add_f32 v6, v96, s[8:9] offset:768           // 000000007F84: DD348300 00086006
	global_atomic_add_f32 v6, v100, s[8:9] offset:1024         // 000000007F8C: DD348400 00086406
	global_atomic_add_f32 v6, v104, s[8:9] offset:1280         // 000000007F94: DD348500 00086806
	global_atomic_add_f32 v6, v108, s[8:9] offset:1536         // 000000007F9C: DD348600 00086C06
	global_atomic_add_f32 v6, v112, s[8:9] offset:1792         // 000000007FA4: DD348700 00087006
	s_mov_b64 exec, s[36:37]                                   // 000000007FAC: BEFE0124
	v_mov_b32_e32 v6, v42                                      // 000000007FB0: 7E0C032A
	s_mov_b64 s[60:61], 0                                      // 000000007FB4: BEBC0180
	v_readlane_b32 s82, v3, 6                                  // 000000007FB8: D2890052 00010D03
	s_and_b32 s82, s82, 0xffffff                               // 000000007FC0: 8652FF52 00FFFFFF
	s_cmp_lt_u32 s82, s66                                      // 000000007FC8: BF0A4252
	s_cselect_b32 s20, s36, s60                                // 000000007FCC: 85143C24
	v_readlane_b32 s82, v3, 7                                  // 000000007FD0: D2890052 00010F03
	s_and_b32 s82, s82, 0xffffff                               // 000000007FD8: 8652FF52 00FFFFFF
	s_cmp_lt_u32 s82, s66                                      // 000000007FE0: BF0A4252
	s_cselect_b32 s21, s36, s60                                // 000000007FE4: 85153C24
	s_mov_b64 exec, s[20:21]                                   // 000000007FE8: BEFE0114
	global_atomic_add_f32 v6, v85, s[8:9]                      // 000000007FEC: DD348000 00085506
	global_atomic_add_f32 v6, v89, s[8:9] offset:256           // 000000007FF4: DD348100 00085906
	global_atomic_add_f32 v6, v93, s[8:9] offset:512           // 000000007FFC: DD348200 00085D06
	global_atomic_add_f32 v6, v97, s[8:9] offset:768           // 000000008004: DD348300 00086106
	global_atomic_add_f32 v6, v101, s[8:9] offset:1024         // 00000000800C: DD348400 00086506
	global_atomic_add_f32 v6, v105, s[8:9] offset:1280         // 000000008014: DD348500 00086906
	global_atomic_add_f32 v6, v109, s[8:9] offset:1536         // 00000000801C: DD348600 00086D06
	global_atomic_add_f32 v6, v113, s[8:9] offset:1792         // 000000008024: DD348700 00087106
	s_mov_b64 exec, s[36:37]                                   // 00000000802C: BEFE0124
	ds_write_b64 v20, v[54:55]                                 // 000000008030: D89A0000 00003614
	ds_write_b64 v20, v[58:59] offset:17408                    // 000000008038: D89A4400 00003A14
	ds_write_b64 v20, v[62:63] offset:2176                     // 000000008040: D89A0880 00003E14
	ds_write_b64 v20, v[66:67] offset:19584                    // 000000008048: D89A4C80 00004214
	ds_write_b64 v20, v[70:71] offset:4352                     // 000000008050: D89A1100 00004614
	ds_write_b64 v20, v[74:75] offset:21760                    // 000000008058: D89A5500 00004A14
	ds_write_b64 v20, v[78:79] offset:6528                     // 000000008060: D89A1980 00004E14
	ds_write_b64 v20, v[82:83] offset:23936                    // 000000008068: D89A5D80 00005214
	ds_write_b64 v20, v[86:87] offset:8704                     // 000000008070: D89A2200 00005614
	ds_write_b64 v20, v[90:91] offset:26112                    // 000000008078: D89A6600 00005A14
	ds_write_b64 v20, v[94:95] offset:10880                    // 000000008080: D89A2A80 00005E14
	ds_write_b64 v20, v[98:99] offset:28288                    // 000000008088: D89A6E80 00006214
	ds_write_b64 v20, v[102:103] offset:13056                  // 000000008090: D89A3300 00006614
	ds_write_b64 v20, v[106:107] offset:30464                  // 000000008098: D89A7700 00006A14
	ds_write_b64 v20, v[110:111] offset:15232                  // 0000000080A0: D89A3B80 00006E14
	ds_write_b64 v20, v[114:115] offset:32640                  // 0000000080A8: D89A7F80 00007214
	s_waitcnt lgkmcnt(0)                                       // 0000000080B0: BF8CC07F
	s_barrier                                                  // 0000000080B4: BF8A0000
	ds_read_b32 v54, v21                                       // 0000000080B8: D86C0000 36000015
	ds_read_b32 v55, v21 offset:64                             // 0000000080C0: D86C0040 37000015
	ds_read_b32 v58, v21 offset:2176                           // 0000000080C8: D86C0880 3A000015
	ds_read_b32 v59, v21 offset:2240                           // 0000000080D0: D86C08C0 3B000015
	ds_read_b32 v62, v21 offset:4352                           // 0000000080D8: D86C1100 3E000015
	ds_read_b32 v63, v21 offset:4416                           // 0000000080E0: D86C1140 3F000015
	ds_read_b32 v66, v21 offset:6528                           // 0000000080E8: D86C1980 42000015
	ds_read_b32 v67, v21 offset:6592                           // 0000000080F0: D86C19C0 43000015
	ds_read_b32 v70, v21 offset:8704                           // 0000000080F8: D86C2200 46000015
	ds_read_b32 v71, v21 offset:8768                           // 000000008100: D86C2240 47000015
	ds_read_b32 v74, v21 offset:10880                          // 000000008108: D86C2A80 4A000015
	ds_read_b32 v75, v21 offset:10944                          // 000000008110: D86C2AC0 4B000015
	ds_read_b32 v78, v21 offset:13056                          // 000000008118: D86C3300 4E000015
	ds_read_b32 v79, v21 offset:13120                          // 000000008120: D86C3340 4F000015
	ds_read_b32 v82, v21 offset:15232                          // 000000008128: D86C3B80 52000015
	ds_read_b32 v83, v21 offset:15296                          // 000000008130: D86C3BC0 53000015
	ds_read_b32 v86, v21 offset:17408                          // 000000008138: D86C4400 56000015
	ds_read_b32 v87, v21 offset:17472                          // 000000008140: D86C4440 57000015
	ds_read_b32 v90, v21 offset:19584                          // 000000008148: D86C4C80 5A000015
	ds_read_b32 v91, v21 offset:19648                          // 000000008150: D86C4CC0 5B000015
	ds_read_b32 v94, v21 offset:21760                          // 000000008158: D86C5500 5E000015
	ds_read_b32 v95, v21 offset:21824                          // 000000008160: D86C5540 5F000015
	ds_read_b32 v98, v21 offset:23936                          // 000000008168: D86C5D80 62000015
	ds_read_b32 v99, v21 offset:24000                          // 000000008170: D86C5DC0 63000015
	ds_read_b32 v102, v21 offset:26112                         // 000000008178: D86C6600 66000015
	ds_read_b32 v103, v21 offset:26176                         // 000000008180: D86C6640 67000015
	ds_read_b32 v106, v21 offset:28288                         // 000000008188: D86C6E80 6A000015
	ds_read_b32 v107, v21 offset:28352                         // 000000008190: D86C6EC0 6B000015
	ds_read_b32 v110, v21 offset:30464                         // 000000008198: D86C7700 6E000015
	ds_read_b32 v111, v21 offset:30528                         // 0000000081A0: D86C7740 6F000015
	ds_read_b32 v114, v21 offset:32640                         // 0000000081A8: D86C7F80 72000015
	ds_read_b32 v115, v21 offset:32704                         // 0000000081B0: D86C7FC0 73000015
	s_waitcnt lgkmcnt(0)                                       // 0000000081B8: BF8CC07F
	v_mov_b32_e32 v7, 0                                        // 0000000081BC: 7E0E0280
	s_mov_b64 exec, s[36:37]                                   // 0000000081C0: BEFE0124
	v_mov_b32_e32 v6, v39                                      // 0000000081C4: 7E0C0327
	s_mov_b64 s[60:61], 0                                      // 0000000081C8: BEBC0180
	v_readlane_b32 s82, v3, 0                                  // 0000000081CC: D2890052 00010103
	s_and_b32 s82, s82, 0xffffff                               // 0000000081D4: 8652FF52 00FFFFFF
	s_cmp_lt_u32 s82, s66                                      // 0000000081DC: BF0A4252
	s_cselect_b32 s20, s36, s60                                // 0000000081E0: 85143C24
	v_readlane_b32 s82, v3, 1                                  // 0000000081E4: D2890052 00010303
	s_and_b32 s82, s82, 0xffffff                               // 0000000081EC: 8652FF52 00FFFFFF
	s_cmp_lt_u32 s82, s66                                      // 0000000081F4: BF0A4252
	s_cselect_b32 s21, s36, s60                                // 0000000081F8: 85153C24
	s_mov_b64 exec, s[20:21]                                   // 0000000081FC: BEFE0114
	global_atomic_add_f32 v6, v54, s[8:9] offset:8             // 000000008200: DD348008 00083606
	global_atomic_add_f32 v6, v58, s[8:9] offset:264           // 000000008208: DD348108 00083A06
	global_atomic_add_f32 v6, v62, s[8:9] offset:520           // 000000008210: DD348208 00083E06
	global_atomic_add_f32 v6, v66, s[8:9] offset:776           // 000000008218: DD348308 00084206
	global_atomic_add_f32 v6, v70, s[8:9] offset:1032          // 000000008220: DD348408 00084606
	global_atomic_add_f32 v6, v74, s[8:9] offset:1288          // 000000008228: DD348508 00084A06
	global_atomic_add_f32 v6, v78, s[8:9] offset:1544          // 000000008230: DD348608 00084E06
	global_atomic_add_f32 v6, v82, s[8:9] offset:1800          // 000000008238: DD348708 00085206
	s_mov_b64 exec, s[36:37]                                   // 000000008240: BEFE0124
	v_mov_b32_e32 v6, v40                                      // 000000008244: 7E0C0328
	s_mov_b64 s[60:61], 0                                      // 000000008248: BEBC0180
	v_readlane_b32 s82, v3, 2                                  // 00000000824C: D2890052 00010503
	s_and_b32 s82, s82, 0xffffff                               // 000000008254: 8652FF52 00FFFFFF
	s_cmp_lt_u32 s82, s66                                      // 00000000825C: BF0A4252
	s_cselect_b32 s20, s36, s60                                // 000000008260: 85143C24
	v_readlane_b32 s82, v3, 3                                  // 000000008264: D2890052 00010703
	s_and_b32 s82, s82, 0xffffff                               // 00000000826C: 8652FF52 00FFFFFF
	s_cmp_lt_u32 s82, s66                                      // 000000008274: BF0A4252
	s_cselect_b32 s21, s36, s60                                // 000000008278: 85153C24
	s_mov_b64 exec, s[20:21]                                   // 00000000827C: BEFE0114
	global_atomic_add_f32 v6, v55, s[8:9] offset:8             // 000000008280: DD348008 00083706
	global_atomic_add_f32 v6, v59, s[8:9] offset:264           // 000000008288: DD348108 00083B06
	global_atomic_add_f32 v6, v63, s[8:9] offset:520           // 000000008290: DD348208 00083F06
	global_atomic_add_f32 v6, v67, s[8:9] offset:776           // 000000008298: DD348308 00084306
	global_atomic_add_f32 v6, v71, s[8:9] offset:1032          // 0000000082A0: DD348408 00084706
	global_atomic_add_f32 v6, v75, s[8:9] offset:1288          // 0000000082A8: DD348508 00084B06
	global_atomic_add_f32 v6, v79, s[8:9] offset:1544          // 0000000082B0: DD348608 00084F06
	global_atomic_add_f32 v6, v83, s[8:9] offset:1800          // 0000000082B8: DD348708 00085306
	s_mov_b64 exec, s[36:37]                                   // 0000000082C0: BEFE0124
	v_mov_b32_e32 v6, v41                                      // 0000000082C4: 7E0C0329
	s_mov_b64 s[60:61], 0                                      // 0000000082C8: BEBC0180
	v_readlane_b32 s82, v3, 4                                  // 0000000082CC: D2890052 00010903
	s_and_b32 s82, s82, 0xffffff                               // 0000000082D4: 8652FF52 00FFFFFF
	s_cmp_lt_u32 s82, s66                                      // 0000000082DC: BF0A4252
	s_cselect_b32 s20, s36, s60                                // 0000000082E0: 85143C24
	v_readlane_b32 s82, v3, 5                                  // 0000000082E4: D2890052 00010B03
	s_and_b32 s82, s82, 0xffffff                               // 0000000082EC: 8652FF52 00FFFFFF
	s_cmp_lt_u32 s82, s66                                      // 0000000082F4: BF0A4252
	s_cselect_b32 s21, s36, s60                                // 0000000082F8: 85153C24
	s_mov_b64 exec, s[20:21]                                   // 0000000082FC: BEFE0114
	global_atomic_add_f32 v6, v86, s[8:9] offset:8             // 000000008300: DD348008 00085606
	global_atomic_add_f32 v6, v90, s[8:9] offset:264           // 000000008308: DD348108 00085A06
	global_atomic_add_f32 v6, v94, s[8:9] offset:520           // 000000008310: DD348208 00085E06
	global_atomic_add_f32 v6, v98, s[8:9] offset:776           // 000000008318: DD348308 00086206
	global_atomic_add_f32 v6, v102, s[8:9] offset:1032         // 000000008320: DD348408 00086606
	global_atomic_add_f32 v6, v106, s[8:9] offset:1288         // 000000008328: DD348508 00086A06
	global_atomic_add_f32 v6, v110, s[8:9] offset:1544         // 000000008330: DD348608 00086E06
	global_atomic_add_f32 v6, v114, s[8:9] offset:1800         // 000000008338: DD348708 00087206
	s_mov_b64 exec, s[36:37]                                   // 000000008340: BEFE0124
	v_mov_b32_e32 v6, v42                                      // 000000008344: 7E0C032A
	s_mov_b64 s[60:61], 0                                      // 000000008348: BEBC0180
	v_readlane_b32 s82, v3, 6                                  // 00000000834C: D2890052 00010D03
	s_and_b32 s82, s82, 0xffffff                               // 000000008354: 8652FF52 00FFFFFF
	s_cmp_lt_u32 s82, s66                                      // 00000000835C: BF0A4252
	s_cselect_b32 s20, s36, s60                                // 000000008360: 85143C24
	v_readlane_b32 s82, v3, 7                                  // 000000008364: D2890052 00010F03
	s_and_b32 s82, s82, 0xffffff                               // 00000000836C: 8652FF52 00FFFFFF
	s_cmp_lt_u32 s82, s66                                      // 000000008374: BF0A4252
	s_cselect_b32 s21, s36, s60                                // 000000008378: 85153C24
	s_mov_b64 exec, s[20:21]                                   // 00000000837C: BEFE0114
	global_atomic_add_f32 v6, v87, s[8:9] offset:8             // 000000008380: DD348008 00085706
	global_atomic_add_f32 v6, v91, s[8:9] offset:264           // 000000008388: DD348108 00085B06
	global_atomic_add_f32 v6, v95, s[8:9] offset:520           // 000000008390: DD348208 00085F06
	global_atomic_add_f32 v6, v99, s[8:9] offset:776           // 000000008398: DD348308 00086306
	global_atomic_add_f32 v6, v103, s[8:9] offset:1032         // 0000000083A0: DD348408 00086706
	global_atomic_add_f32 v6, v107, s[8:9] offset:1288         // 0000000083A8: DD348508 00086B06
	global_atomic_add_f32 v6, v111, s[8:9] offset:1544         // 0000000083B0: DD348608 00086F06
	global_atomic_add_f32 v6, v115, s[8:9] offset:1800         // 0000000083B8: DD348708 00087306
	s_mov_b64 exec, s[36:37]                                   // 0000000083C0: BEFE0124
	ds_write_b64 v20, v[116:117]                               // 0000000083C4: D89A0000 00007414
	ds_write_b64 v20, v[120:121] offset:17408                  // 0000000083CC: D89A4400 00007814
	ds_write_b64 v20, v[124:125] offset:2176                   // 0000000083D4: D89A0880 00007C14
	ds_write_b64 v20, v[128:129] offset:19584                  // 0000000083DC: D89A4C80 00008014
	ds_write_b64 v20, v[132:133] offset:4352                   // 0000000083E4: D89A1100 00008414
	ds_write_b64 v20, v[136:137] offset:21760                  // 0000000083EC: D89A5500 00008814
	ds_write_b64 v20, v[140:141] offset:6528                   // 0000000083F4: D89A1980 00008C14
	ds_write_b64 v20, v[144:145] offset:23936                  // 0000000083FC: D89A5D80 00009014
	ds_write_b64 v20, v[148:149] offset:8704                   // 000000008404: D89A2200 00009414
	ds_write_b64 v20, v[152:153] offset:26112                  // 00000000840C: D89A6600 00009814
	ds_write_b64 v20, v[156:157] offset:10880                  // 000000008414: D89A2A80 00009C14
	ds_write_b64 v20, v[160:161] offset:28288                  // 00000000841C: D89A6E80 0000A014
	ds_write_b64 v20, v[164:165] offset:13056                  // 000000008424: D89A3300 0000A414
	ds_write_b64 v20, v[168:169] offset:30464                  // 00000000842C: D89A7700 0000A814
	ds_write_b64 v20, v[172:173] offset:15232                  // 000000008434: D89A3B80 0000AC14
	ds_write_b64 v20, v[176:177] offset:32640                  // 00000000843C: D89A7F80 0000B014
	s_waitcnt lgkmcnt(0)                                       // 000000008444: BF8CC07F
	s_barrier                                                  // 000000008448: BF8A0000
	ds_read_b32 v116, v21                                      // 00000000844C: D86C0000 74000015
	ds_read_b32 v117, v21 offset:64                            // 000000008454: D86C0040 75000015
	ds_read_b32 v120, v21 offset:2176                          // 00000000845C: D86C0880 78000015
	ds_read_b32 v121, v21 offset:2240                          // 000000008464: D86C08C0 79000015
	ds_read_b32 v124, v21 offset:4352                          // 00000000846C: D86C1100 7C000015
	ds_read_b32 v125, v21 offset:4416                          // 000000008474: D86C1140 7D000015
	ds_read_b32 v128, v21 offset:6528                          // 00000000847C: D86C1980 80000015
	ds_read_b32 v129, v21 offset:6592                          // 000000008484: D86C19C0 81000015
	ds_read_b32 v132, v21 offset:8704                          // 00000000848C: D86C2200 84000015
	ds_read_b32 v133, v21 offset:8768                          // 000000008494: D86C2240 85000015
	ds_read_b32 v136, v21 offset:10880                         // 00000000849C: D86C2A80 88000015
	ds_read_b32 v137, v21 offset:10944                         // 0000000084A4: D86C2AC0 89000015
	ds_read_b32 v140, v21 offset:13056                         // 0000000084AC: D86C3300 8C000015
	ds_read_b32 v141, v21 offset:13120                         // 0000000084B4: D86C3340 8D000015
	ds_read_b32 v144, v21 offset:15232                         // 0000000084BC: D86C3B80 90000015
	ds_read_b32 v145, v21 offset:15296                         // 0000000084C4: D86C3BC0 91000015
	ds_read_b32 v148, v21 offset:17408                         // 0000000084CC: D86C4400 94000015
	ds_read_b32 v149, v21 offset:17472                         // 0000000084D4: D86C4440 95000015
	ds_read_b32 v152, v21 offset:19584                         // 0000000084DC: D86C4C80 98000015
	ds_read_b32 v153, v21 offset:19648                         // 0000000084E4: D86C4CC0 99000015
	ds_read_b32 v156, v21 offset:21760                         // 0000000084EC: D86C5500 9C000015
	ds_read_b32 v157, v21 offset:21824                         // 0000000084F4: D86C5540 9D000015
	ds_read_b32 v160, v21 offset:23936                         // 0000000084FC: D86C5D80 A0000015
	ds_read_b32 v161, v21 offset:24000                         // 000000008504: D86C5DC0 A1000015
	ds_read_b32 v164, v21 offset:26112                         // 00000000850C: D86C6600 A4000015
	ds_read_b32 v165, v21 offset:26176                         // 000000008514: D86C6640 A5000015
	ds_read_b32 v168, v21 offset:28288                         // 00000000851C: D86C6E80 A8000015
	ds_read_b32 v169, v21 offset:28352                         // 000000008524: D86C6EC0 A9000015
	ds_read_b32 v172, v21 offset:30464                         // 00000000852C: D86C7700 AC000015
	ds_read_b32 v173, v21 offset:30528                         // 000000008534: D86C7740 AD000015
	ds_read_b32 v176, v21 offset:32640                         // 00000000853C: D86C7F80 B0000015
	ds_read_b32 v177, v21 offset:32704                         // 000000008544: D86C7FC0 B1000015
	s_mul_i32 s60, s65, 4                                      // 00000000854C: 923C8441
	s_add_u32 s8, s60, s8                                      // 000000008550: 8008083C
	s_addc_u32 s9, 0, s9                                       // 000000008554: 82090980
	s_waitcnt lgkmcnt(0)                                       // 000000008558: BF8CC07F
	v_mov_b32_e32 v7, 0                                        // 00000000855C: 7E0E0280
	s_mov_b64 exec, s[36:37]                                   // 000000008560: BEFE0124
	v_mov_b32_e32 v6, v39                                      // 000000008564: 7E0C0327
	s_mov_b64 s[60:61], 0                                      // 000000008568: BEBC0180
	v_readlane_b32 s82, v3, 0                                  // 00000000856C: D2890052 00010103
	s_and_b32 s82, s82, 0xffffff                               // 000000008574: 8652FF52 00FFFFFF
	s_cmp_lt_u32 s82, s66                                      // 00000000857C: BF0A4252
	s_cselect_b32 s20, s36, s60                                // 000000008580: 85143C24
	v_readlane_b32 s82, v3, 1                                  // 000000008584: D2890052 00010303
	s_and_b32 s82, s82, 0xffffff                               // 00000000858C: 8652FF52 00FFFFFF
	s_cmp_lt_u32 s82, s66                                      // 000000008594: BF0A4252
	s_cselect_b32 s21, s36, s60                                // 000000008598: 85153C24
	s_mov_b64 exec, s[20:21]                                   // 00000000859C: BEFE0114
	global_atomic_add_f32 v6, v116, s[8:9]                     // 0000000085A0: DD348000 00087406
	global_atomic_add_f32 v6, v120, s[8:9] offset:256          // 0000000085A8: DD348100 00087806
	global_atomic_add_f32 v6, v124, s[8:9] offset:512          // 0000000085B0: DD348200 00087C06
	global_atomic_add_f32 v6, v128, s[8:9] offset:768          // 0000000085B8: DD348300 00088006
	global_atomic_add_f32 v6, v132, s[8:9] offset:1024         // 0000000085C0: DD348400 00088406
	global_atomic_add_f32 v6, v136, s[8:9] offset:1280         // 0000000085C8: DD348500 00088806
	global_atomic_add_f32 v6, v140, s[8:9] offset:1536         // 0000000085D0: DD348600 00088C06
	global_atomic_add_f32 v6, v144, s[8:9] offset:1792         // 0000000085D8: DD348700 00089006
	s_mov_b64 exec, s[36:37]                                   // 0000000085E0: BEFE0124
	v_mov_b32_e32 v6, v40                                      // 0000000085E4: 7E0C0328
	s_mov_b64 s[60:61], 0                                      // 0000000085E8: BEBC0180
	v_readlane_b32 s82, v3, 2                                  // 0000000085EC: D2890052 00010503
	s_and_b32 s82, s82, 0xffffff                               // 0000000085F4: 8652FF52 00FFFFFF
	s_cmp_lt_u32 s82, s66                                      // 0000000085FC: BF0A4252
	s_cselect_b32 s20, s36, s60                                // 000000008600: 85143C24
	v_readlane_b32 s82, v3, 3                                  // 000000008604: D2890052 00010703
	s_and_b32 s82, s82, 0xffffff                               // 00000000860C: 8652FF52 00FFFFFF
	s_cmp_lt_u32 s82, s66                                      // 000000008614: BF0A4252
	s_cselect_b32 s21, s36, s60                                // 000000008618: 85153C24
	s_mov_b64 exec, s[20:21]                                   // 00000000861C: BEFE0114
	global_atomic_add_f32 v6, v117, s[8:9]                     // 000000008620: DD348000 00087506
	global_atomic_add_f32 v6, v121, s[8:9] offset:256          // 000000008628: DD348100 00087906
	global_atomic_add_f32 v6, v125, s[8:9] offset:512          // 000000008630: DD348200 00087D06
	global_atomic_add_f32 v6, v129, s[8:9] offset:768          // 000000008638: DD348300 00088106
	global_atomic_add_f32 v6, v133, s[8:9] offset:1024         // 000000008640: DD348400 00088506
	global_atomic_add_f32 v6, v137, s[8:9] offset:1280         // 000000008648: DD348500 00088906
	global_atomic_add_f32 v6, v141, s[8:9] offset:1536         // 000000008650: DD348600 00088D06
	global_atomic_add_f32 v6, v145, s[8:9] offset:1792         // 000000008658: DD348700 00089106
	s_mov_b64 exec, s[36:37]                                   // 000000008660: BEFE0124
	v_mov_b32_e32 v6, v41                                      // 000000008664: 7E0C0329
	s_mov_b64 s[60:61], 0                                      // 000000008668: BEBC0180
	v_readlane_b32 s82, v3, 4                                  // 00000000866C: D2890052 00010903
	s_and_b32 s82, s82, 0xffffff                               // 000000008674: 8652FF52 00FFFFFF
	s_cmp_lt_u32 s82, s66                                      // 00000000867C: BF0A4252
	s_cselect_b32 s20, s36, s60                                // 000000008680: 85143C24
	v_readlane_b32 s82, v3, 5                                  // 000000008684: D2890052 00010B03
	s_and_b32 s82, s82, 0xffffff                               // 00000000868C: 8652FF52 00FFFFFF
	s_cmp_lt_u32 s82, s66                                      // 000000008694: BF0A4252
	s_cselect_b32 s21, s36, s60                                // 000000008698: 85153C24
	s_mov_b64 exec, s[20:21]                                   // 00000000869C: BEFE0114
	global_atomic_add_f32 v6, v148, s[8:9]                     // 0000000086A0: DD348000 00089406
	global_atomic_add_f32 v6, v152, s[8:9] offset:256          // 0000000086A8: DD348100 00089806
	global_atomic_add_f32 v6, v156, s[8:9] offset:512          // 0000000086B0: DD348200 00089C06
	global_atomic_add_f32 v6, v160, s[8:9] offset:768          // 0000000086B8: DD348300 0008A006
	global_atomic_add_f32 v6, v164, s[8:9] offset:1024         // 0000000086C0: DD348400 0008A406
	global_atomic_add_f32 v6, v168, s[8:9] offset:1280         // 0000000086C8: DD348500 0008A806
	global_atomic_add_f32 v6, v172, s[8:9] offset:1536         // 0000000086D0: DD348600 0008AC06
	global_atomic_add_f32 v6, v176, s[8:9] offset:1792         // 0000000086D8: DD348700 0008B006
	s_mov_b64 exec, s[36:37]                                   // 0000000086E0: BEFE0124
	v_mov_b32_e32 v6, v42                                      // 0000000086E4: 7E0C032A
	s_mov_b64 s[60:61], 0                                      // 0000000086E8: BEBC0180
	v_readlane_b32 s82, v3, 6                                  // 0000000086EC: D2890052 00010D03
	s_and_b32 s82, s82, 0xffffff                               // 0000000086F4: 8652FF52 00FFFFFF
	s_cmp_lt_u32 s82, s66                                      // 0000000086FC: BF0A4252
	s_cselect_b32 s20, s36, s60                                // 000000008700: 85143C24
	v_readlane_b32 s82, v3, 7                                  // 000000008704: D2890052 00010F03
	s_and_b32 s82, s82, 0xffffff                               // 00000000870C: 8652FF52 00FFFFFF
	s_cmp_lt_u32 s82, s66                                      // 000000008714: BF0A4252
	s_cselect_b32 s21, s36, s60                                // 000000008718: 85153C24
	s_mov_b64 exec, s[20:21]                                   // 00000000871C: BEFE0114
	global_atomic_add_f32 v6, v149, s[8:9]                     // 000000008720: DD348000 00089506
	global_atomic_add_f32 v6, v153, s[8:9] offset:256          // 000000008728: DD348100 00089906
	global_atomic_add_f32 v6, v157, s[8:9] offset:512          // 000000008730: DD348200 00089D06
	global_atomic_add_f32 v6, v161, s[8:9] offset:768          // 000000008738: DD348300 0008A106
	global_atomic_add_f32 v6, v165, s[8:9] offset:1024         // 000000008740: DD348400 0008A506
	global_atomic_add_f32 v6, v169, s[8:9] offset:1280         // 000000008748: DD348500 0008A906
	global_atomic_add_f32 v6, v173, s[8:9] offset:1536         // 000000008750: DD348600 0008AD06
	global_atomic_add_f32 v6, v177, s[8:9] offset:1792         // 000000008758: DD348700 0008B106
	s_mov_b64 exec, s[36:37]                                   // 000000008760: BEFE0124
	ds_write_b64 v20, v[118:119]                               // 000000008764: D89A0000 00007614
	ds_write_b64 v20, v[122:123] offset:17408                  // 00000000876C: D89A4400 00007A14
	ds_write_b64 v20, v[126:127] offset:2176                   // 000000008774: D89A0880 00007E14
	ds_write_b64 v20, v[130:131] offset:19584                  // 00000000877C: D89A4C80 00008214
	ds_write_b64 v20, v[134:135] offset:4352                   // 000000008784: D89A1100 00008614
	ds_write_b64 v20, v[138:139] offset:21760                  // 00000000878C: D89A5500 00008A14
	ds_write_b64 v20, v[142:143] offset:6528                   // 000000008794: D89A1980 00008E14
	ds_write_b64 v20, v[146:147] offset:23936                  // 00000000879C: D89A5D80 00009214
	ds_write_b64 v20, v[150:151] offset:8704                   // 0000000087A4: D89A2200 00009614
	ds_write_b64 v20, v[154:155] offset:26112                  // 0000000087AC: D89A6600 00009A14
	ds_write_b64 v20, v[158:159] offset:10880                  // 0000000087B4: D89A2A80 00009E14
	ds_write_b64 v20, v[162:163] offset:28288                  // 0000000087BC: D89A6E80 0000A214
	ds_write_b64 v20, v[166:167] offset:13056                  // 0000000087C4: D89A3300 0000A614
	ds_write_b64 v20, v[170:171] offset:30464                  // 0000000087CC: D89A7700 0000AA14
	ds_write_b64 v20, v[174:175] offset:15232                  // 0000000087D4: D89A3B80 0000AE14
	ds_write_b64 v20, v[178:179] offset:32640                  // 0000000087DC: D89A7F80 0000B214
	s_waitcnt lgkmcnt(0)                                       // 0000000087E4: BF8CC07F
	s_barrier                                                  // 0000000087E8: BF8A0000
	ds_read_b32 v118, v21                                      // 0000000087EC: D86C0000 76000015
	ds_read_b32 v119, v21 offset:64                            // 0000000087F4: D86C0040 77000015
	ds_read_b32 v122, v21 offset:2176                          // 0000000087FC: D86C0880 7A000015
	ds_read_b32 v123, v21 offset:2240                          // 000000008804: D86C08C0 7B000015
	ds_read_b32 v126, v21 offset:4352                          // 00000000880C: D86C1100 7E000015
	ds_read_b32 v127, v21 offset:4416                          // 000000008814: D86C1140 7F000015
	ds_read_b32 v130, v21 offset:6528                          // 00000000881C: D86C1980 82000015
	ds_read_b32 v131, v21 offset:6592                          // 000000008824: D86C19C0 83000015
	ds_read_b32 v134, v21 offset:8704                          // 00000000882C: D86C2200 86000015
	ds_read_b32 v135, v21 offset:8768                          // 000000008834: D86C2240 87000015
	ds_read_b32 v138, v21 offset:10880                         // 00000000883C: D86C2A80 8A000015
	ds_read_b32 v139, v21 offset:10944                         // 000000008844: D86C2AC0 8B000015
	ds_read_b32 v142, v21 offset:13056                         // 00000000884C: D86C3300 8E000015
	ds_read_b32 v143, v21 offset:13120                         // 000000008854: D86C3340 8F000015
	ds_read_b32 v146, v21 offset:15232                         // 00000000885C: D86C3B80 92000015
	ds_read_b32 v147, v21 offset:15296                         // 000000008864: D86C3BC0 93000015
	ds_read_b32 v150, v21 offset:17408                         // 00000000886C: D86C4400 96000015
	ds_read_b32 v151, v21 offset:17472                         // 000000008874: D86C4440 97000015
	ds_read_b32 v154, v21 offset:19584                         // 00000000887C: D86C4C80 9A000015
	ds_read_b32 v155, v21 offset:19648                         // 000000008884: D86C4CC0 9B000015
	ds_read_b32 v158, v21 offset:21760                         // 00000000888C: D86C5500 9E000015
	ds_read_b32 v159, v21 offset:21824                         // 000000008894: D86C5540 9F000015
	ds_read_b32 v162, v21 offset:23936                         // 00000000889C: D86C5D80 A2000015
	ds_read_b32 v163, v21 offset:24000                         // 0000000088A4: D86C5DC0 A3000015
	ds_read_b32 v166, v21 offset:26112                         // 0000000088AC: D86C6600 A6000015
	ds_read_b32 v167, v21 offset:26176                         // 0000000088B4: D86C6640 A7000015
	ds_read_b32 v170, v21 offset:28288                         // 0000000088BC: D86C6E80 AA000015
	ds_read_b32 v171, v21 offset:28352                         // 0000000088C4: D86C6EC0 AB000015
	ds_read_b32 v174, v21 offset:30464                         // 0000000088CC: D86C7700 AE000015
	ds_read_b32 v175, v21 offset:30528                         // 0000000088D4: D86C7740 AF000015
	ds_read_b32 v178, v21 offset:32640                         // 0000000088DC: D86C7F80 B2000015
	ds_read_b32 v179, v21 offset:32704                         // 0000000088E4: D86C7FC0 B3000015
	s_waitcnt lgkmcnt(0)                                       // 0000000088EC: BF8CC07F
	v_mov_b32_e32 v7, 0                                        // 0000000088F0: 7E0E0280
	s_mov_b64 exec, s[36:37]                                   // 0000000088F4: BEFE0124
	v_mov_b32_e32 v6, v39                                      // 0000000088F8: 7E0C0327
	s_mov_b64 s[60:61], 0                                      // 0000000088FC: BEBC0180
	v_readlane_b32 s82, v3, 0                                  // 000000008900: D2890052 00010103
	s_and_b32 s82, s82, 0xffffff                               // 000000008908: 8652FF52 00FFFFFF
	s_cmp_lt_u32 s82, s66                                      // 000000008910: BF0A4252
	s_cselect_b32 s20, s36, s60                                // 000000008914: 85143C24
	v_readlane_b32 s82, v3, 1                                  // 000000008918: D2890052 00010303
	s_and_b32 s82, s82, 0xffffff                               // 000000008920: 8652FF52 00FFFFFF
	s_cmp_lt_u32 s82, s66                                      // 000000008928: BF0A4252
	s_cselect_b32 s21, s36, s60                                // 00000000892C: 85153C24
	s_mov_b64 exec, s[20:21]                                   // 000000008930: BEFE0114
	global_atomic_add_f32 v6, v118, s[8:9] offset:8            // 000000008934: DD348008 00087606
	global_atomic_add_f32 v6, v122, s[8:9] offset:264          // 00000000893C: DD348108 00087A06
	global_atomic_add_f32 v6, v126, s[8:9] offset:520          // 000000008944: DD348208 00087E06
	global_atomic_add_f32 v6, v130, s[8:9] offset:776          // 00000000894C: DD348308 00088206
	global_atomic_add_f32 v6, v134, s[8:9] offset:1032         // 000000008954: DD348408 00088606
	global_atomic_add_f32 v6, v138, s[8:9] offset:1288         // 00000000895C: DD348508 00088A06
	global_atomic_add_f32 v6, v142, s[8:9] offset:1544         // 000000008964: DD348608 00088E06
	global_atomic_add_f32 v6, v146, s[8:9] offset:1800         // 00000000896C: DD348708 00089206
	s_mov_b64 exec, s[36:37]                                   // 000000008974: BEFE0124
	v_mov_b32_e32 v6, v40                                      // 000000008978: 7E0C0328
	s_mov_b64 s[60:61], 0                                      // 00000000897C: BEBC0180
	v_readlane_b32 s82, v3, 2                                  // 000000008980: D2890052 00010503
	s_and_b32 s82, s82, 0xffffff                               // 000000008988: 8652FF52 00FFFFFF
	s_cmp_lt_u32 s82, s66                                      // 000000008990: BF0A4252
	s_cselect_b32 s20, s36, s60                                // 000000008994: 85143C24
	v_readlane_b32 s82, v3, 3                                  // 000000008998: D2890052 00010703
	s_and_b32 s82, s82, 0xffffff                               // 0000000089A0: 8652FF52 00FFFFFF
	s_cmp_lt_u32 s82, s66                                      // 0000000089A8: BF0A4252
	s_cselect_b32 s21, s36, s60                                // 0000000089AC: 85153C24
	s_mov_b64 exec, s[20:21]                                   // 0000000089B0: BEFE0114
	global_atomic_add_f32 v6, v119, s[8:9] offset:8            // 0000000089B4: DD348008 00087706
	global_atomic_add_f32 v6, v123, s[8:9] offset:264          // 0000000089BC: DD348108 00087B06
	global_atomic_add_f32 v6, v127, s[8:9] offset:520          // 0000000089C4: DD348208 00087F06
	global_atomic_add_f32 v6, v131, s[8:9] offset:776          // 0000000089CC: DD348308 00088306
	global_atomic_add_f32 v6, v135, s[8:9] offset:1032         // 0000000089D4: DD348408 00088706
	global_atomic_add_f32 v6, v139, s[8:9] offset:1288         // 0000000089DC: DD348508 00088B06
	global_atomic_add_f32 v6, v143, s[8:9] offset:1544         // 0000000089E4: DD348608 00088F06
	global_atomic_add_f32 v6, v147, s[8:9] offset:1800         // 0000000089EC: DD348708 00089306
	s_mov_b64 exec, s[36:37]                                   // 0000000089F4: BEFE0124
	v_mov_b32_e32 v6, v41                                      // 0000000089F8: 7E0C0329
	s_mov_b64 s[60:61], 0                                      // 0000000089FC: BEBC0180
	v_readlane_b32 s82, v3, 4                                  // 000000008A00: D2890052 00010903
	s_and_b32 s82, s82, 0xffffff                               // 000000008A08: 8652FF52 00FFFFFF
	s_cmp_lt_u32 s82, s66                                      // 000000008A10: BF0A4252
	s_cselect_b32 s20, s36, s60                                // 000000008A14: 85143C24
	v_readlane_b32 s82, v3, 5                                  // 000000008A18: D2890052 00010B03
	s_and_b32 s82, s82, 0xffffff                               // 000000008A20: 8652FF52 00FFFFFF
	s_cmp_lt_u32 s82, s66                                      // 000000008A28: BF0A4252
	s_cselect_b32 s21, s36, s60                                // 000000008A2C: 85153C24
	s_mov_b64 exec, s[20:21]                                   // 000000008A30: BEFE0114
	global_atomic_add_f32 v6, v150, s[8:9] offset:8            // 000000008A34: DD348008 00089606
	global_atomic_add_f32 v6, v154, s[8:9] offset:264          // 000000008A3C: DD348108 00089A06
	global_atomic_add_f32 v6, v158, s[8:9] offset:520          // 000000008A44: DD348208 00089E06
	global_atomic_add_f32 v6, v162, s[8:9] offset:776          // 000000008A4C: DD348308 0008A206
	global_atomic_add_f32 v6, v166, s[8:9] offset:1032         // 000000008A54: DD348408 0008A606
	global_atomic_add_f32 v6, v170, s[8:9] offset:1288         // 000000008A5C: DD348508 0008AA06
	global_atomic_add_f32 v6, v174, s[8:9] offset:1544         // 000000008A64: DD348608 0008AE06
	global_atomic_add_f32 v6, v178, s[8:9] offset:1800         // 000000008A6C: DD348708 0008B206
	s_mov_b64 exec, s[36:37]                                   // 000000008A74: BEFE0124
	v_mov_b32_e32 v6, v42                                      // 000000008A78: 7E0C032A
	s_mov_b64 s[60:61], 0                                      // 000000008A7C: BEBC0180
	v_readlane_b32 s82, v3, 6                                  // 000000008A80: D2890052 00010D03
	s_and_b32 s82, s82, 0xffffff                               // 000000008A88: 8652FF52 00FFFFFF
	s_cmp_lt_u32 s82, s66                                      // 000000008A90: BF0A4252
	s_cselect_b32 s20, s36, s60                                // 000000008A94: 85143C24
	v_readlane_b32 s82, v3, 7                                  // 000000008A98: D2890052 00010F03
	s_and_b32 s82, s82, 0xffffff                               // 000000008AA0: 8652FF52 00FFFFFF
	s_cmp_lt_u32 s82, s66                                      // 000000008AA8: BF0A4252
	s_cselect_b32 s21, s36, s60                                // 000000008AAC: 85153C24
	s_mov_b64 exec, s[20:21]                                   // 000000008AB0: BEFE0114
	global_atomic_add_f32 v6, v151, s[8:9] offset:8            // 000000008AB4: DD348008 00089706
	global_atomic_add_f32 v6, v155, s[8:9] offset:264          // 000000008ABC: DD348108 00089B06
	global_atomic_add_f32 v6, v159, s[8:9] offset:520          // 000000008AC4: DD348208 00089F06
	global_atomic_add_f32 v6, v163, s[8:9] offset:776          // 000000008ACC: DD348308 0008A306
	global_atomic_add_f32 v6, v167, s[8:9] offset:1032         // 000000008AD4: DD348408 0008A706
	global_atomic_add_f32 v6, v171, s[8:9] offset:1288         // 000000008ADC: DD348508 0008AB06
	global_atomic_add_f32 v6, v175, s[8:9] offset:1544         // 000000008AE4: DD348608 0008AF06
	global_atomic_add_f32 v6, v179, s[8:9] offset:1800         // 000000008AEC: DD348708 0008B306
	s_mov_b64 exec, s[36:37]                                   // 000000008AF4: BEFE0124
	s_branch label_2E00                                        // 000000008AF8: BF8215BE

0000000000008afc <label_1842>:
	s_waitcnt vmcnt(20) lgkmcnt(0)                             // 000000008AFC: BF8C4074
	v_mfma_f32_16x16x32_fp8_fp8 v[52:55], a[32:33], a[0:1], v[52:55]// 000000008B00: D3F30034 1CD20120
	buffer_load_dwordx4 a[160:163], v43, s[24:27], 0 offen     // 000000008B08: E05C1000 8086A02B
	v_mfma_f32_16x16x32_fp8_fp8 v[52:55], a[34:35], a[2:3], v[52:55]// 000000008B10: D3F30034 1CD20522
	v_mfma_f32_16x16x32_fp8_fp8 v[52:55], a[36:37], a[4:5], v[52:55]// 000000008B18: D3F30034 1CD20924
	v_mfma_f32_16x16x32_fp8_fp8 v[52:55], a[38:39], a[6:7], v[52:55]// 000000008B20: D3F30034 1CD20D26
	v_mfma_f32_16x16x32_fp8_fp8 v[60:63], a[40:41], a[0:1], v[60:63]// 000000008B28: D3F3003C 1CF20128
	buffer_load_dwordx4 a[164:167], v43, s[24:27], 0 offen offset:1024// 000000008B30: E05C1400 8086A42B
	v_mfma_f32_16x16x32_fp8_fp8 v[60:63], a[42:43], a[2:3], v[60:63]// 000000008B38: D3F3003C 1CF2052A
	v_mfma_f32_16x16x32_fp8_fp8 v[60:63], a[44:45], a[4:5], v[60:63]// 000000008B40: D3F3003C 1CF2092C
	v_mfma_f32_16x16x32_fp8_fp8 v[60:63], a[46:47], a[6:7], v[60:63]// 000000008B48: D3F3003C 1CF20D2E
	v_mfma_f32_16x16x32_fp8_fp8 v[68:71], a[48:49], a[0:1], v[68:71]// 000000008B50: D3F30044 1D120130
	buffer_load_dwordx4 a[168:171], v44, s[24:27], 0 offen     // 000000008B58: E05C1000 8086A82C
	v_mfma_f32_16x16x32_fp8_fp8 v[68:71], a[50:51], a[2:3], v[68:71]// 000000008B60: D3F30044 1D120532
	v_mfma_f32_16x16x32_fp8_fp8 v[68:71], a[52:53], a[4:5], v[68:71]// 000000008B68: D3F30044 1D120934
	v_mfma_f32_16x16x32_fp8_fp8 v[68:71], a[54:55], a[6:7], v[68:71]// 000000008B70: D3F30044 1D120D36
	v_mfma_f32_16x16x32_fp8_fp8 v[76:79], a[56:57], a[0:1], v[76:79]// 000000008B78: D3F3004C 1D320138
	buffer_load_dwordx4 a[172:175], v44, s[24:27], 0 offen offset:1024// 000000008B80: E05C1400 8086AC2C
	v_mfma_f32_16x16x32_fp8_fp8 v[76:79], a[58:59], a[2:3], v[76:79]// 000000008B88: D3F3004C 1D32053A
	v_mfma_f32_16x16x32_fp8_fp8 v[76:79], a[60:61], a[4:5], v[76:79]// 000000008B90: D3F3004C 1D32093C
	v_mfma_f32_16x16x32_fp8_fp8 v[76:79], a[62:63], a[6:7], v[76:79]// 000000008B98: D3F3004C 1D320D3E
	v_mfma_f32_16x16x32_fp8_fp8 v[84:87], a[64:65], a[0:1], v[84:87]// 000000008BA0: D3F30054 1D520140
	buffer_load_dwordx4 a[176:179], v45, s[24:27], 0 offen     // 000000008BA8: E05C1000 8086B02D
	v_mfma_f32_16x16x32_fp8_fp8 v[84:87], a[66:67], a[2:3], v[84:87]// 000000008BB0: D3F30054 1D520542
	v_mfma_f32_16x16x32_fp8_fp8 v[84:87], a[68:69], a[4:5], v[84:87]// 000000008BB8: D3F30054 1D520944
	v_mfma_f32_16x16x32_fp8_fp8 v[84:87], a[70:71], a[6:7], v[84:87]// 000000008BC0: D3F30054 1D520D46
	v_mfma_f32_16x16x32_fp8_fp8 v[92:95], a[72:73], a[0:1], v[92:95]// 000000008BC8: D3F3005C 1D720148
	buffer_load_dwordx4 a[180:183], v45, s[24:27], 0 offen offset:1024// 000000008BD0: E05C1400 8086B42D
	v_mfma_f32_16x16x32_fp8_fp8 v[92:95], a[74:75], a[2:3], v[92:95]// 000000008BD8: D3F3005C 1D72054A
	v_mfma_f32_16x16x32_fp8_fp8 v[92:95], a[76:77], a[4:5], v[92:95]// 000000008BE0: D3F3005C 1D72094C
	v_mfma_f32_16x16x32_fp8_fp8 v[92:95], a[78:79], a[6:7], v[92:95]// 000000008BE8: D3F3005C 1D720D4E
	v_mfma_f32_16x16x32_fp8_fp8 v[100:103], a[80:81], a[0:1], v[100:103]// 000000008BF0: D3F30064 1D920150
	buffer_load_dwordx4 a[184:187], v46, s[24:27], 0 offen     // 000000008BF8: E05C1000 8086B82E
	v_mfma_f32_16x16x32_fp8_fp8 v[100:103], a[82:83], a[2:3], v[100:103]// 000000008C00: D3F30064 1D920552
	v_mfma_f32_16x16x32_fp8_fp8 v[100:103], a[84:85], a[4:5], v[100:103]// 000000008C08: D3F30064 1D920954
	v_mfma_f32_16x16x32_fp8_fp8 v[100:103], a[86:87], a[6:7], v[100:103]// 000000008C10: D3F30064 1D920D56
	v_mfma_f32_16x16x32_fp8_fp8 v[108:111], a[88:89], a[0:1], v[108:111]// 000000008C18: D3F3006C 1DB20158
	buffer_load_dwordx4 a[188:191], v46, s[24:27], 0 offen offset:1024// 000000008C20: E05C1400 8086BC2E
	v_mfma_f32_16x16x32_fp8_fp8 v[108:111], a[90:91], a[2:3], v[108:111]// 000000008C28: D3F3006C 1DB2055A
	v_mfma_f32_16x16x32_fp8_fp8 v[108:111], a[92:93], a[4:5], v[108:111]// 000000008C30: D3F3006C 1DB2095C
	v_mfma_f32_16x16x32_fp8_fp8 v[108:111], a[94:95], a[6:7], v[108:111]// 000000008C38: D3F3006C 1DB20D5E
	v_mfma_f32_16x16x32_fp8_fp8 v[56:59], a[32:33], a[8:9], v[56:59]// 000000008C40: D3F30038 1CE21120
	buffer_load_dwordx4 a[192:195], v47, s[24:27], 0 offen     // 000000008C48: E05C1000 8086C02F
	v_mfma_f32_16x16x32_fp8_fp8 v[56:59], a[34:35], a[10:11], v[56:59]// 000000008C50: D3F30038 1CE21522
	v_mfma_f32_16x16x32_fp8_fp8 v[56:59], a[36:37], a[12:13], v[56:59]// 000000008C58: D3F30038 1CE21924
	v_mfma_f32_16x16x32_fp8_fp8 v[56:59], a[38:39], a[14:15], v[56:59]// 000000008C60: D3F30038 1CE21D26
	v_mfma_f32_16x16x32_fp8_fp8 v[64:67], a[40:41], a[8:9], v[64:67]// 000000008C68: D3F30040 1D021128
	buffer_load_dwordx4 a[196:199], v47, s[24:27], 0 offen offset:1024// 000000008C70: E05C1400 8086C42F
	v_mfma_f32_16x16x32_fp8_fp8 v[64:67], a[42:43], a[10:11], v[64:67]// 000000008C78: D3F30040 1D02152A
	v_mfma_f32_16x16x32_fp8_fp8 v[64:67], a[44:45], a[12:13], v[64:67]// 000000008C80: D3F30040 1D02192C
	v_mfma_f32_16x16x32_fp8_fp8 v[64:67], a[46:47], a[14:15], v[64:67]// 000000008C88: D3F30040 1D021D2E
	v_mfma_f32_16x16x32_fp8_fp8 v[72:75], a[48:49], a[8:9], v[72:75]// 000000008C90: D3F30048 1D221130
	buffer_load_dwordx4 a[200:203], v48, s[24:27], 0 offen     // 000000008C98: E05C1000 8086C830
	v_mfma_f32_16x16x32_fp8_fp8 v[72:75], a[50:51], a[10:11], v[72:75]// 000000008CA0: D3F30048 1D221532
	v_mfma_f32_16x16x32_fp8_fp8 v[72:75], a[52:53], a[12:13], v[72:75]// 000000008CA8: D3F30048 1D221934
	v_mfma_f32_16x16x32_fp8_fp8 v[72:75], a[54:55], a[14:15], v[72:75]// 000000008CB0: D3F30048 1D221D36
	v_mfma_f32_16x16x32_fp8_fp8 v[80:83], a[56:57], a[8:9], v[80:83]// 000000008CB8: D3F30050 1D421138
	buffer_load_dwordx4 a[204:207], v48, s[24:27], 0 offen offset:1024// 000000008CC0: E05C1400 8086CC30
	v_mfma_f32_16x16x32_fp8_fp8 v[80:83], a[58:59], a[10:11], v[80:83]// 000000008CC8: D3F30050 1D42153A
	v_mfma_f32_16x16x32_fp8_fp8 v[80:83], a[60:61], a[12:13], v[80:83]// 000000008CD0: D3F30050 1D42193C
	v_mfma_f32_16x16x32_fp8_fp8 v[80:83], a[62:63], a[14:15], v[80:83]// 000000008CD8: D3F30050 1D421D3E
	v_mfma_f32_16x16x32_fp8_fp8 v[88:91], a[64:65], a[8:9], v[88:91]// 000000008CE0: D3F30058 1D621140
	buffer_load_dwordx4 a[208:211], v49, s[24:27], 0 offen     // 000000008CE8: E05C1000 8086D031
	v_mfma_f32_16x16x32_fp8_fp8 v[88:91], a[66:67], a[10:11], v[88:91]// 000000008CF0: D3F30058 1D621542
	v_mfma_f32_16x16x32_fp8_fp8 v[88:91], a[68:69], a[12:13], v[88:91]// 000000008CF8: D3F30058 1D621944
	v_mfma_f32_16x16x32_fp8_fp8 v[88:91], a[70:71], a[14:15], v[88:91]// 000000008D00: D3F30058 1D621D46
	v_mfma_f32_16x16x32_fp8_fp8 v[96:99], a[72:73], a[8:9], v[96:99]// 000000008D08: D3F30060 1D821148
	buffer_load_dwordx4 a[212:215], v49, s[24:27], 0 offen offset:1024// 000000008D10: E05C1400 8086D431
	v_mfma_f32_16x16x32_fp8_fp8 v[96:99], a[74:75], a[10:11], v[96:99]// 000000008D18: D3F30060 1D82154A
	v_mfma_f32_16x16x32_fp8_fp8 v[96:99], a[76:77], a[12:13], v[96:99]// 000000008D20: D3F30060 1D82194C
	v_mfma_f32_16x16x32_fp8_fp8 v[96:99], a[78:79], a[14:15], v[96:99]// 000000008D28: D3F30060 1D821D4E
	v_mfma_f32_16x16x32_fp8_fp8 v[104:107], a[80:81], a[8:9], v[104:107]// 000000008D30: D3F30068 1DA21150
	buffer_load_dwordx4 a[216:219], v50, s[24:27], 0 offen     // 000000008D38: E05C1000 8086D832
	v_mfma_f32_16x16x32_fp8_fp8 v[104:107], a[82:83], a[10:11], v[104:107]// 000000008D40: D3F30068 1DA21552
	v_mfma_f32_16x16x32_fp8_fp8 v[104:107], a[84:85], a[12:13], v[104:107]// 000000008D48: D3F30068 1DA21954
	v_mfma_f32_16x16x32_fp8_fp8 v[104:107], a[86:87], a[14:15], v[104:107]// 000000008D50: D3F30068 1DA21D56
	v_mfma_f32_16x16x32_fp8_fp8 v[112:115], a[88:89], a[8:9], v[112:115]// 000000008D58: D3F30070 1DC21158
	buffer_load_dwordx4 a[220:223], v50, s[24:27], 0 offen offset:1024// 000000008D60: E05C1400 8086DC32
	buffer_load_dword v39, s[20:23], 0 offen lds               // 000000008D68: E0511000 80050027
	s_add_u32 m0, 0x100, s50                                   // 000000008D70: 807C32FF 00000100
	v_mfma_f32_16x16x32_fp8_fp8 v[112:115], a[90:91], a[10:11], v[112:115]// 000000008D78: D3F30070 1DC2155A
	v_mfma_f32_16x16x32_fp8_fp8 v[112:115], a[92:93], a[12:13], v[112:115]// 000000008D80: D3F30070 1DC2195C
	buffer_load_dword v40, s[20:23], 0 offen lds               // 000000008D88: E0511000 80050028
	s_add_u32 m0, 0x200, s50                                   // 000000008D90: 807C32FF 00000200
	v_mfma_f32_16x16x32_fp8_fp8 v[112:115], a[94:95], a[14:15], v[112:115]// 000000008D98: D3F30070 1DC21D5E
	buffer_load_dword v41, s[20:23], 0 offen lds               // 000000008DA0: E0511000 80050029
	s_add_u32 m0, 0x300, s50                                   // 000000008DA8: 807C32FF 00000300
	buffer_load_dword v42, s[20:23], 0 offen lds               // 000000008DB0: E0511000 8005002A
	s_add_u32 m0, 0, s48                                       // 000000008DB8: 807C3080
	s_waitcnt vmcnt(20)                                        // 000000008DBC: BF8C4F74
	s_barrier                                                  // 000000008DC0: BF8A0000
	v_mfma_f32_16x16x32_fp8_fp8 v[116:119], a[96:97], a[0:1], v[116:119]// 000000008DC4: D3F30074 1DD20160
	buffer_load_dwordx4 a[32:35], v43, s[84:87], 0 offen       // 000000008DCC: E05C1000 8095202B
	v_mfma_f32_16x16x32_fp8_fp8 v[116:119], a[98:99], a[2:3], v[116:119]// 000000008DD4: D3F30074 1DD20562
	v_mfma_f32_16x16x32_fp8_fp8 v[116:119], a[100:101], a[4:5], v[116:119]// 000000008DDC: D3F30074 1DD20964
	ds_read_b128 a[16:19], v2 offset:4224                      // 000000008DE4: DBFE1080 10000002
	ds_read_b128 a[20:23], v2 offset:4288                      // 000000008DEC: DBFE10C0 14000002
	v_mfma_f32_16x16x32_fp8_fp8 v[116:119], a[102:103], a[6:7], v[116:119]// 000000008DF4: D3F30074 1DD20D66
	v_mfma_f32_16x16x32_fp8_fp8 v[124:127], a[104:105], a[0:1], v[124:127]// 000000008DFC: D3F3007C 1DF20168
	buffer_load_dwordx4 a[36:39], v43, s[84:87], 0 offen offset:1024// 000000008E04: E05C1400 8095242B
	v_mfma_f32_16x16x32_fp8_fp8 v[124:127], a[106:107], a[2:3], v[124:127]// 000000008E0C: D3F3007C 1DF2056A
	v_mfma_f32_16x16x32_fp8_fp8 v[124:127], a[108:109], a[4:5], v[124:127]// 000000008E14: D3F3007C 1DF2096C
	ds_read_b128 a[24:27], v2 offset:4736                      // 000000008E1C: DBFE1280 18000002
	ds_read_b128 a[28:31], v2 offset:4800                      // 000000008E24: DBFE12C0 1C000002
	v_mfma_f32_16x16x32_fp8_fp8 v[124:127], a[110:111], a[6:7], v[124:127]// 000000008E2C: D3F3007C 1DF20D6E
	v_mfma_f32_16x16x32_fp8_fp8 v[132:135], a[112:113], a[0:1], v[132:135]// 000000008E34: D3F30084 1E120170
	buffer_load_dwordx4 a[40:43], v44, s[84:87], 0 offen       // 000000008E3C: E05C1000 8095282C
	v_mfma_f32_16x16x32_fp8_fp8 v[132:135], a[114:115], a[2:3], v[132:135]// 000000008E44: D3F30084 1E120572
	v_mfma_f32_16x16x32_fp8_fp8 v[132:135], a[116:117], a[4:5], v[132:135]// 000000008E4C: D3F30084 1E120974
	v_mfma_f32_16x16x32_fp8_fp8 v[132:135], a[118:119], a[6:7], v[132:135]// 000000008E54: D3F30084 1E120D76
	v_mfma_f32_16x16x32_fp8_fp8 v[140:143], a[120:121], a[0:1], v[140:143]// 000000008E5C: D3F3008C 1E320178
	buffer_load_dwordx4 a[44:47], v44, s[84:87], 0 offen offset:1024// 000000008E64: E05C1400 80952C2C
	v_mfma_f32_16x16x32_fp8_fp8 v[140:143], a[122:123], a[2:3], v[140:143]// 000000008E6C: D3F3008C 1E32057A
	v_mfma_f32_16x16x32_fp8_fp8 v[140:143], a[124:125], a[4:5], v[140:143]// 000000008E74: D3F3008C 1E32097C
	v_mfma_f32_16x16x32_fp8_fp8 v[140:143], a[126:127], a[6:7], v[140:143]// 000000008E7C: D3F3008C 1E320D7E
	v_mfma_f32_16x16x32_fp8_fp8 v[148:151], a[128:129], a[0:1], v[148:151]// 000000008E84: D3F30094 1E520180
	buffer_load_dwordx4 a[48:51], v45, s[84:87], 0 offen       // 000000008E8C: E05C1000 8095302D
	v_mfma_f32_16x16x32_fp8_fp8 v[148:151], a[130:131], a[2:3], v[148:151]// 000000008E94: D3F30094 1E520582
	v_mfma_f32_16x16x32_fp8_fp8 v[148:151], a[132:133], a[4:5], v[148:151]// 000000008E9C: D3F30094 1E520984
	v_mfma_f32_16x16x32_fp8_fp8 v[148:151], a[134:135], a[6:7], v[148:151]// 000000008EA4: D3F30094 1E520D86
	v_mfma_f32_16x16x32_fp8_fp8 v[156:159], a[136:137], a[0:1], v[156:159]// 000000008EAC: D3F3009C 1E720188
	buffer_load_dwordx4 a[52:55], v45, s[84:87], 0 offen offset:1024// 000000008EB4: E05C1400 8095342D
	v_mfma_f32_16x16x32_fp8_fp8 v[156:159], a[138:139], a[2:3], v[156:159]// 000000008EBC: D3F3009C 1E72058A
	v_mfma_f32_16x16x32_fp8_fp8 v[156:159], a[140:141], a[4:5], v[156:159]// 000000008EC4: D3F3009C 1E72098C
	v_mfma_f32_16x16x32_fp8_fp8 v[156:159], a[142:143], a[6:7], v[156:159]// 000000008ECC: D3F3009C 1E720D8E
	v_mfma_f32_16x16x32_fp8_fp8 v[164:167], a[144:145], a[0:1], v[164:167]// 000000008ED4: D3F300A4 1E920190
	buffer_load_dwordx4 a[56:59], v46, s[84:87], 0 offen       // 000000008EDC: E05C1000 8095382E
	v_mfma_f32_16x16x32_fp8_fp8 v[164:167], a[146:147], a[2:3], v[164:167]// 000000008EE4: D3F300A4 1E920592
	v_mfma_f32_16x16x32_fp8_fp8 v[164:167], a[148:149], a[4:5], v[164:167]// 000000008EEC: D3F300A4 1E920994
	v_mfma_f32_16x16x32_fp8_fp8 v[164:167], a[150:151], a[6:7], v[164:167]// 000000008EF4: D3F300A4 1E920D96
	v_mfma_f32_16x16x32_fp8_fp8 v[172:175], a[152:153], a[0:1], v[172:175]// 000000008EFC: D3F300AC 1EB20198
	buffer_load_dwordx4 a[60:63], v46, s[84:87], 0 offen offset:1024// 000000008F04: E05C1400 80953C2E
	v_mfma_f32_16x16x32_fp8_fp8 v[172:175], a[154:155], a[2:3], v[172:175]// 000000008F0C: D3F300AC 1EB2059A
	v_mfma_f32_16x16x32_fp8_fp8 v[172:175], a[156:157], a[4:5], v[172:175]// 000000008F14: D3F300AC 1EB2099C
	v_mfma_f32_16x16x32_fp8_fp8 v[172:175], a[158:159], a[6:7], v[172:175]// 000000008F1C: D3F300AC 1EB20D9E
	v_mfma_f32_16x16x32_fp8_fp8 v[120:123], a[96:97], a[8:9], v[120:123]// 000000008F24: D3F30078 1DE21160
	buffer_load_dwordx4 a[64:67], v47, s[84:87], 0 offen       // 000000008F2C: E05C1000 8095402F
	v_mfma_f32_16x16x32_fp8_fp8 v[120:123], a[98:99], a[10:11], v[120:123]// 000000008F34: D3F30078 1DE21562
	v_mfma_f32_16x16x32_fp8_fp8 v[120:123], a[100:101], a[12:13], v[120:123]// 000000008F3C: D3F30078 1DE21964
	v_mfma_f32_16x16x32_fp8_fp8 v[120:123], a[102:103], a[14:15], v[120:123]// 000000008F44: D3F30078 1DE21D66
	v_mfma_f32_16x16x32_fp8_fp8 v[128:131], a[104:105], a[8:9], v[128:131]// 000000008F4C: D3F30080 1E021168
	buffer_load_dwordx4 a[68:71], v47, s[84:87], 0 offen offset:1024// 000000008F54: E05C1400 8095442F
	v_mfma_f32_16x16x32_fp8_fp8 v[128:131], a[106:107], a[10:11], v[128:131]// 000000008F5C: D3F30080 1E02156A
	v_mfma_f32_16x16x32_fp8_fp8 v[128:131], a[108:109], a[12:13], v[128:131]// 000000008F64: D3F30080 1E02196C
	v_mfma_f32_16x16x32_fp8_fp8 v[128:131], a[110:111], a[14:15], v[128:131]// 000000008F6C: D3F30080 1E021D6E
	v_mfma_f32_16x16x32_fp8_fp8 v[136:139], a[112:113], a[8:9], v[136:139]// 000000008F74: D3F30088 1E221170
	buffer_load_dwordx4 a[72:75], v48, s[84:87], 0 offen       // 000000008F7C: E05C1000 80954830
	v_mfma_f32_16x16x32_fp8_fp8 v[136:139], a[114:115], a[10:11], v[136:139]// 000000008F84: D3F30088 1E221572
	v_mfma_f32_16x16x32_fp8_fp8 v[136:139], a[116:117], a[12:13], v[136:139]// 000000008F8C: D3F30088 1E221974
	v_mfma_f32_16x16x32_fp8_fp8 v[136:139], a[118:119], a[14:15], v[136:139]// 000000008F94: D3F30088 1E221D76
	v_mfma_f32_16x16x32_fp8_fp8 v[144:147], a[120:121], a[8:9], v[144:147]// 000000008F9C: D3F30090 1E421178
	buffer_load_dwordx4 a[76:79], v48, s[84:87], 0 offen offset:1024// 000000008FA4: E05C1400 80954C30
	v_mfma_f32_16x16x32_fp8_fp8 v[144:147], a[122:123], a[10:11], v[144:147]// 000000008FAC: D3F30090 1E42157A
	v_mfma_f32_16x16x32_fp8_fp8 v[144:147], a[124:125], a[12:13], v[144:147]// 000000008FB4: D3F30090 1E42197C
	v_mfma_f32_16x16x32_fp8_fp8 v[144:147], a[126:127], a[14:15], v[144:147]// 000000008FBC: D3F30090 1E421D7E
	v_mfma_f32_16x16x32_fp8_fp8 v[152:155], a[128:129], a[8:9], v[152:155]// 000000008FC4: D3F30098 1E621180
	buffer_load_dwordx4 a[80:83], v49, s[84:87], 0 offen       // 000000008FCC: E05C1000 80955031
	v_mfma_f32_16x16x32_fp8_fp8 v[152:155], a[130:131], a[10:11], v[152:155]// 000000008FD4: D3F30098 1E621582
	v_mfma_f32_16x16x32_fp8_fp8 v[152:155], a[132:133], a[12:13], v[152:155]// 000000008FDC: D3F30098 1E621984
	v_mfma_f32_16x16x32_fp8_fp8 v[152:155], a[134:135], a[14:15], v[152:155]// 000000008FE4: D3F30098 1E621D86
	v_mfma_f32_16x16x32_fp8_fp8 v[160:163], a[136:137], a[8:9], v[160:163]// 000000008FEC: D3F300A0 1E821188
	buffer_load_dwordx4 a[84:87], v49, s[84:87], 0 offen offset:1024// 000000008FF4: E05C1400 80955431
	v_mfma_f32_16x16x32_fp8_fp8 v[160:163], a[138:139], a[10:11], v[160:163]// 000000008FFC: D3F300A0 1E82158A
	v_mfma_f32_16x16x32_fp8_fp8 v[160:163], a[140:141], a[12:13], v[160:163]// 000000009004: D3F300A0 1E82198C
	v_mfma_f32_16x16x32_fp8_fp8 v[160:163], a[142:143], a[14:15], v[160:163]// 00000000900C: D3F300A0 1E821D8E
	v_mfma_f32_16x16x32_fp8_fp8 v[168:171], a[144:145], a[8:9], v[168:171]// 000000009014: D3F300A8 1EA21190
	buffer_load_dwordx4 a[88:91], v50, s[84:87], 0 offen       // 00000000901C: E05C1000 80955832
	s_add_u32 s60, 0x180, s80                                  // 000000009024: 803C50FF 00000180
	s_cmp_lt_u32 s60, s81                                      // 00000000902C: BF0A513C
	s_cselect_b32 s57, s57, 0                                  // 000000009030: 85398039
	v_mfma_f32_16x16x32_fp8_fp8 v[168:171], a[146:147], a[10:11], v[168:171]// 000000009034: D3F300A8 1EA21592
	s_add_u32 s60, 0x100, s80                                  // 00000000903C: 803C50FF 00000100
	s_cmp_lt_u32 s60, s81                                      // 000000009044: BF0A513C
	s_cselect_b32 s58, s58, 0                                  // 000000009048: 853A803A
	v_mfma_f32_16x16x32_fp8_fp8 v[168:171], a[148:149], a[12:13], v[168:171]// 00000000904C: D3F300A8 1EA21994
	s_add_u32 s60, 0x100, s80                                  // 000000009054: 803C50FF 00000100
	s_cmp_lt_u32 s60, s81                                      // 00000000905C: BF0A513C
	s_cselect_b32 s83, s83, 0                                  // 000000009060: 85538053
	v_mfma_f32_16x16x32_fp8_fp8 v[168:171], a[150:151], a[14:15], v[168:171]// 000000009064: D3F300A8 1EA21D96
	s_add_u32 s24, s58, s24                                    // 00000000906C: 8018183A
	s_addc_u32 s25, 0, s25                                     // 000000009070: 82191980
	v_mfma_f32_16x16x32_fp8_fp8 v[176:179], a[152:153], a[8:9], v[176:179]// 000000009074: D3F300B0 1EC21198
	buffer_load_dwordx4 a[92:95], v50, s[84:87], 0 offen offset:1024// 00000000907C: E05C1400 80955C32
	s_add_u32 s20, s57, s20                                    // 000000009084: 80141439
	s_addc_u32 s21, 0, s21                                     // 000000009088: 82151580
	v_mfma_f32_16x16x32_fp8_fp8 v[176:179], a[154:155], a[10:11], v[176:179]// 00000000908C: D3F300B0 1EC2159A
	s_add_u32 s84, s83, s84                                    // 000000009094: 80545453
	s_addc_u32 s85, 0, s85                                     // 000000009098: 82555580
	v_mfma_f32_16x16x32_fp8_fp8 v[176:179], a[156:157], a[12:13], v[176:179]// 00000000909C: D3F300B0 1EC2199C
	v_mfma_f32_16x16x32_fp8_fp8 v[176:179], a[158:159], a[14:15], v[176:179]// 0000000090A4: D3F300B0 1EC21D9E
	s_addk_i32 s80, 0x80                                       // 0000000090AC: B7500080
	s_cmp_lt_i32 s80, s81                                      // 0000000090B0: BF045150
	s_cbranch_scc0 label_20DD                                  // 0000000090B4: BF84072C
	s_waitcnt vmcnt(20) lgkmcnt(0)                             // 0000000090B8: BF8C4074
	v_mfma_f32_16x16x32_fp8_fp8 v[52:55], a[160:161], a[16:17], v[52:55]// 0000000090BC: D3F30034 1CD221A0
	buffer_load_dwordx4 a[96:99], v43, s[24:27], 0 offen       // 0000000090C4: E05C1000 8086602B
	v_mfma_f32_16x16x32_fp8_fp8 v[52:55], a[162:163], a[18:19], v[52:55]// 0000000090CC: D3F30034 1CD225A2
	v_mfma_f32_16x16x32_fp8_fp8 v[52:55], a[164:165], a[20:21], v[52:55]// 0000000090D4: D3F30034 1CD229A4
	v_mfma_f32_16x16x32_fp8_fp8 v[52:55], a[166:167], a[22:23], v[52:55]// 0000000090DC: D3F30034 1CD22DA6
	v_mfma_f32_16x16x32_fp8_fp8 v[60:63], a[168:169], a[16:17], v[60:63]// 0000000090E4: D3F3003C 1CF221A8
	buffer_load_dwordx4 a[100:103], v43, s[24:27], 0 offen offset:1024// 0000000090EC: E05C1400 8086642B
	v_mfma_f32_16x16x32_fp8_fp8 v[60:63], a[170:171], a[18:19], v[60:63]// 0000000090F4: D3F3003C 1CF225AA
	v_mfma_f32_16x16x32_fp8_fp8 v[60:63], a[172:173], a[20:21], v[60:63]// 0000000090FC: D3F3003C 1CF229AC
	v_mfma_f32_16x16x32_fp8_fp8 v[60:63], a[174:175], a[22:23], v[60:63]// 000000009104: D3F3003C 1CF22DAE
	v_mfma_f32_16x16x32_fp8_fp8 v[68:71], a[176:177], a[16:17], v[68:71]// 00000000910C: D3F30044 1D1221B0
	buffer_load_dwordx4 a[104:107], v44, s[24:27], 0 offen     // 000000009114: E05C1000 8086682C
	v_mfma_f32_16x16x32_fp8_fp8 v[68:71], a[178:179], a[18:19], v[68:71]// 00000000911C: D3F30044 1D1225B2
	v_mfma_f32_16x16x32_fp8_fp8 v[68:71], a[180:181], a[20:21], v[68:71]// 000000009124: D3F30044 1D1229B4
	v_mfma_f32_16x16x32_fp8_fp8 v[68:71], a[182:183], a[22:23], v[68:71]// 00000000912C: D3F30044 1D122DB6
	v_mfma_f32_16x16x32_fp8_fp8 v[76:79], a[184:185], a[16:17], v[76:79]// 000000009134: D3F3004C 1D3221B8
	buffer_load_dwordx4 a[108:111], v44, s[24:27], 0 offen offset:1024// 00000000913C: E05C1400 80866C2C
	v_mfma_f32_16x16x32_fp8_fp8 v[76:79], a[186:187], a[18:19], v[76:79]// 000000009144: D3F3004C 1D3225BA
	v_mfma_f32_16x16x32_fp8_fp8 v[76:79], a[188:189], a[20:21], v[76:79]// 00000000914C: D3F3004C 1D3229BC
	v_mfma_f32_16x16x32_fp8_fp8 v[76:79], a[190:191], a[22:23], v[76:79]// 000000009154: D3F3004C 1D322DBE
	v_mfma_f32_16x16x32_fp8_fp8 v[84:87], a[192:193], a[16:17], v[84:87]// 00000000915C: D3F30054 1D5221C0
	buffer_load_dwordx4 a[112:115], v45, s[24:27], 0 offen     // 000000009164: E05C1000 8086702D
	v_mfma_f32_16x16x32_fp8_fp8 v[84:87], a[194:195], a[18:19], v[84:87]// 00000000916C: D3F30054 1D5225C2
	v_mfma_f32_16x16x32_fp8_fp8 v[84:87], a[196:197], a[20:21], v[84:87]// 000000009174: D3F30054 1D5229C4
	v_mfma_f32_16x16x32_fp8_fp8 v[84:87], a[198:199], a[22:23], v[84:87]// 00000000917C: D3F30054 1D522DC6
	v_mfma_f32_16x16x32_fp8_fp8 v[92:95], a[200:201], a[16:17], v[92:95]// 000000009184: D3F3005C 1D7221C8
	buffer_load_dwordx4 a[116:119], v45, s[24:27], 0 offen offset:1024// 00000000918C: E05C1400 8086742D
	v_mfma_f32_16x16x32_fp8_fp8 v[92:95], a[202:203], a[18:19], v[92:95]// 000000009194: D3F3005C 1D7225CA
	v_mfma_f32_16x16x32_fp8_fp8 v[92:95], a[204:205], a[20:21], v[92:95]// 00000000919C: D3F3005C 1D7229CC
	v_mfma_f32_16x16x32_fp8_fp8 v[92:95], a[206:207], a[22:23], v[92:95]// 0000000091A4: D3F3005C 1D722DCE
	v_mfma_f32_16x16x32_fp8_fp8 v[100:103], a[208:209], a[16:17], v[100:103]// 0000000091AC: D3F30064 1D9221D0
	buffer_load_dwordx4 a[120:123], v46, s[24:27], 0 offen     // 0000000091B4: E05C1000 8086782E
	v_mfma_f32_16x16x32_fp8_fp8 v[100:103], a[210:211], a[18:19], v[100:103]// 0000000091BC: D3F30064 1D9225D2
	v_mfma_f32_16x16x32_fp8_fp8 v[100:103], a[212:213], a[20:21], v[100:103]// 0000000091C4: D3F30064 1D9229D4
	v_mfma_f32_16x16x32_fp8_fp8 v[100:103], a[214:215], a[22:23], v[100:103]// 0000000091CC: D3F30064 1D922DD6
	v_mfma_f32_16x16x32_fp8_fp8 v[108:111], a[216:217], a[16:17], v[108:111]// 0000000091D4: D3F3006C 1DB221D8
	buffer_load_dwordx4 a[124:127], v46, s[24:27], 0 offen offset:1024// 0000000091DC: E05C1400 80867C2E
	v_mfma_f32_16x16x32_fp8_fp8 v[108:111], a[218:219], a[18:19], v[108:111]// 0000000091E4: D3F3006C 1DB225DA
	v_mfma_f32_16x16x32_fp8_fp8 v[108:111], a[220:221], a[20:21], v[108:111]// 0000000091EC: D3F3006C 1DB229DC
	v_mfma_f32_16x16x32_fp8_fp8 v[108:111], a[222:223], a[22:23], v[108:111]// 0000000091F4: D3F3006C 1DB22DDE
	v_mfma_f32_16x16x32_fp8_fp8 v[56:59], a[160:161], a[24:25], v[56:59]// 0000000091FC: D3F30038 1CE231A0
	buffer_load_dwordx4 a[128:131], v47, s[24:27], 0 offen     // 000000009204: E05C1000 8086802F
	v_mfma_f32_16x16x32_fp8_fp8 v[56:59], a[162:163], a[26:27], v[56:59]// 00000000920C: D3F30038 1CE235A2
	v_mfma_f32_16x16x32_fp8_fp8 v[56:59], a[164:165], a[28:29], v[56:59]// 000000009214: D3F30038 1CE239A4
	v_mfma_f32_16x16x32_fp8_fp8 v[56:59], a[166:167], a[30:31], v[56:59]// 00000000921C: D3F30038 1CE23DA6
	v_mfma_f32_16x16x32_fp8_fp8 v[64:67], a[168:169], a[24:25], v[64:67]// 000000009224: D3F30040 1D0231A8
	buffer_load_dwordx4 a[132:135], v47, s[24:27], 0 offen offset:1024// 00000000922C: E05C1400 8086842F
	v_mfma_f32_16x16x32_fp8_fp8 v[64:67], a[170:171], a[26:27], v[64:67]// 000000009234: D3F30040 1D0235AA
	v_mfma_f32_16x16x32_fp8_fp8 v[64:67], a[172:173], a[28:29], v[64:67]// 00000000923C: D3F30040 1D0239AC
	v_mfma_f32_16x16x32_fp8_fp8 v[64:67], a[174:175], a[30:31], v[64:67]// 000000009244: D3F30040 1D023DAE
	v_mfma_f32_16x16x32_fp8_fp8 v[72:75], a[176:177], a[24:25], v[72:75]// 00000000924C: D3F30048 1D2231B0
	buffer_load_dwordx4 a[136:139], v48, s[24:27], 0 offen     // 000000009254: E05C1000 80868830
	v_mfma_f32_16x16x32_fp8_fp8 v[72:75], a[178:179], a[26:27], v[72:75]// 00000000925C: D3F30048 1D2235B2
	v_mfma_f32_16x16x32_fp8_fp8 v[72:75], a[180:181], a[28:29], v[72:75]// 000000009264: D3F30048 1D2239B4
	v_mfma_f32_16x16x32_fp8_fp8 v[72:75], a[182:183], a[30:31], v[72:75]// 00000000926C: D3F30048 1D223DB6
	v_mfma_f32_16x16x32_fp8_fp8 v[80:83], a[184:185], a[24:25], v[80:83]// 000000009274: D3F30050 1D4231B8
	buffer_load_dwordx4 a[140:143], v48, s[24:27], 0 offen offset:1024// 00000000927C: E05C1400 80868C30
	v_mfma_f32_16x16x32_fp8_fp8 v[80:83], a[186:187], a[26:27], v[80:83]// 000000009284: D3F30050 1D4235BA
	v_mfma_f32_16x16x32_fp8_fp8 v[80:83], a[188:189], a[28:29], v[80:83]// 00000000928C: D3F30050 1D4239BC
	v_mfma_f32_16x16x32_fp8_fp8 v[80:83], a[190:191], a[30:31], v[80:83]// 000000009294: D3F30050 1D423DBE
	v_mfma_f32_16x16x32_fp8_fp8 v[88:91], a[192:193], a[24:25], v[88:91]// 00000000929C: D3F30058 1D6231C0
	buffer_load_dwordx4 a[144:147], v49, s[24:27], 0 offen     // 0000000092A4: E05C1000 80869031
	v_mfma_f32_16x16x32_fp8_fp8 v[88:91], a[194:195], a[26:27], v[88:91]// 0000000092AC: D3F30058 1D6235C2
	v_mfma_f32_16x16x32_fp8_fp8 v[88:91], a[196:197], a[28:29], v[88:91]// 0000000092B4: D3F30058 1D6239C4
	v_mfma_f32_16x16x32_fp8_fp8 v[88:91], a[198:199], a[30:31], v[88:91]// 0000000092BC: D3F30058 1D623DC6
	v_mfma_f32_16x16x32_fp8_fp8 v[96:99], a[200:201], a[24:25], v[96:99]// 0000000092C4: D3F30060 1D8231C8
	buffer_load_dwordx4 a[148:151], v49, s[24:27], 0 offen offset:1024// 0000000092CC: E05C1400 80869431
	v_mfma_f32_16x16x32_fp8_fp8 v[96:99], a[202:203], a[26:27], v[96:99]// 0000000092D4: D3F30060 1D8235CA
	v_mfma_f32_16x16x32_fp8_fp8 v[96:99], a[204:205], a[28:29], v[96:99]// 0000000092DC: D3F30060 1D8239CC
	v_mfma_f32_16x16x32_fp8_fp8 v[96:99], a[206:207], a[30:31], v[96:99]// 0000000092E4: D3F30060 1D823DCE
	v_mfma_f32_16x16x32_fp8_fp8 v[104:107], a[208:209], a[24:25], v[104:107]// 0000000092EC: D3F30068 1DA231D0
	buffer_load_dwordx4 a[152:155], v50, s[24:27], 0 offen     // 0000000092F4: E05C1000 80869832
	v_mfma_f32_16x16x32_fp8_fp8 v[104:107], a[210:211], a[26:27], v[104:107]// 0000000092FC: D3F30068 1DA235D2
	v_mfma_f32_16x16x32_fp8_fp8 v[104:107], a[212:213], a[28:29], v[104:107]// 000000009304: D3F30068 1DA239D4
	v_mfma_f32_16x16x32_fp8_fp8 v[104:107], a[214:215], a[30:31], v[104:107]// 00000000930C: D3F30068 1DA23DD6
	v_mfma_f32_16x16x32_fp8_fp8 v[112:115], a[216:217], a[24:25], v[112:115]// 000000009314: D3F30070 1DC231D8
	buffer_load_dwordx4 a[156:159], v50, s[24:27], 0 offen offset:1024// 00000000931C: E05C1400 80869C32
	buffer_load_dword v39, s[20:23], 0 offen lds               // 000000009324: E0511000 80050027
	s_add_u32 m0, 0x100, s48                                   // 00000000932C: 807C30FF 00000100
	v_mfma_f32_16x16x32_fp8_fp8 v[112:115], a[218:219], a[26:27], v[112:115]// 000000009334: D3F30070 1DC235DA
	v_mfma_f32_16x16x32_fp8_fp8 v[112:115], a[220:221], a[28:29], v[112:115]// 00000000933C: D3F30070 1DC239DC
	buffer_load_dword v40, s[20:23], 0 offen lds               // 000000009344: E0511000 80050028
	s_add_u32 m0, 0x200, s48                                   // 00000000934C: 807C30FF 00000200
	v_mfma_f32_16x16x32_fp8_fp8 v[112:115], a[222:223], a[30:31], v[112:115]// 000000009354: D3F30070 1DC23DDE
	buffer_load_dword v41, s[20:23], 0 offen lds               // 00000000935C: E0511000 80050029
	s_add_u32 m0, 0x300, s48                                   // 000000009364: 807C30FF 00000300
	buffer_load_dword v42, s[20:23], 0 offen lds               // 00000000936C: E0511000 8005002A
	s_add_u32 m0, 0, s49                                       // 000000009374: 807C3180
	s_waitcnt vmcnt(20)                                        // 000000009378: BF8C4F74
	s_barrier                                                  // 00000000937C: BF8A0000
	v_mfma_f32_16x16x32_fp8_fp8 v[116:119], a[32:33], a[16:17], v[116:119]// 000000009380: D3F30074 1DD22120
	buffer_load_dwordx4 a[160:163], v43, s[84:87], 0 offen     // 000000009388: E05C1000 8095A02B
	v_mfma_f32_16x16x32_fp8_fp8 v[116:119], a[34:35], a[18:19], v[116:119]// 000000009390: D3F30074 1DD22522
	v_mfma_f32_16x16x32_fp8_fp8 v[116:119], a[36:37], a[20:21], v[116:119]// 000000009398: D3F30074 1DD22924
	ds_read_b128 a[0:3], v2 offset:8448                        // 0000000093A0: DBFE2100 00000002
	ds_read_b128 a[4:7], v2 offset:8512                        // 0000000093A8: DBFE2140 04000002
	v_mfma_f32_16x16x32_fp8_fp8 v[116:119], a[38:39], a[22:23], v[116:119]// 0000000093B0: D3F30074 1DD22D26
	v_mfma_f32_16x16x32_fp8_fp8 v[124:127], a[40:41], a[16:17], v[124:127]// 0000000093B8: D3F3007C 1DF22128
	buffer_load_dwordx4 a[164:167], v43, s[84:87], 0 offen offset:1024// 0000000093C0: E05C1400 8095A42B
	v_mfma_f32_16x16x32_fp8_fp8 v[124:127], a[42:43], a[18:19], v[124:127]// 0000000093C8: D3F3007C 1DF2252A
	v_mfma_f32_16x16x32_fp8_fp8 v[124:127], a[44:45], a[20:21], v[124:127]// 0000000093D0: D3F3007C 1DF2292C
	ds_read_b128 a[8:11], v2 offset:8960                       // 0000000093D8: DBFE2300 08000002
	ds_read_b128 a[12:15], v2 offset:9024                      // 0000000093E0: DBFE2340 0C000002
	v_mfma_f32_16x16x32_fp8_fp8 v[124:127], a[46:47], a[22:23], v[124:127]// 0000000093E8: D3F3007C 1DF22D2E
	v_mfma_f32_16x16x32_fp8_fp8 v[132:135], a[48:49], a[16:17], v[132:135]// 0000000093F0: D3F30084 1E122130
	buffer_load_dwordx4 a[168:171], v44, s[84:87], 0 offen     // 0000000093F8: E05C1000 8095A82C
	v_mfma_f32_16x16x32_fp8_fp8 v[132:135], a[50:51], a[18:19], v[132:135]// 000000009400: D3F30084 1E122532
	v_mfma_f32_16x16x32_fp8_fp8 v[132:135], a[52:53], a[20:21], v[132:135]// 000000009408: D3F30084 1E122934
	v_mfma_f32_16x16x32_fp8_fp8 v[132:135], a[54:55], a[22:23], v[132:135]// 000000009410: D3F30084 1E122D36
	v_mfma_f32_16x16x32_fp8_fp8 v[140:143], a[56:57], a[16:17], v[140:143]// 000000009418: D3F3008C 1E322138
	buffer_load_dwordx4 a[172:175], v44, s[84:87], 0 offen offset:1024// 000000009420: E05C1400 8095AC2C
	v_mfma_f32_16x16x32_fp8_fp8 v[140:143], a[58:59], a[18:19], v[140:143]// 000000009428: D3F3008C 1E32253A
	v_mfma_f32_16x16x32_fp8_fp8 v[140:143], a[60:61], a[20:21], v[140:143]// 000000009430: D3F3008C 1E32293C
	v_mfma_f32_16x16x32_fp8_fp8 v[140:143], a[62:63], a[22:23], v[140:143]// 000000009438: D3F3008C 1E322D3E
	v_mfma_f32_16x16x32_fp8_fp8 v[148:151], a[64:65], a[16:17], v[148:151]// 000000009440: D3F30094 1E522140
	buffer_load_dwordx4 a[176:179], v45, s[84:87], 0 offen     // 000000009448: E05C1000 8095B02D
	v_mfma_f32_16x16x32_fp8_fp8 v[148:151], a[66:67], a[18:19], v[148:151]// 000000009450: D3F30094 1E522542
	v_mfma_f32_16x16x32_fp8_fp8 v[148:151], a[68:69], a[20:21], v[148:151]// 000000009458: D3F30094 1E522944
	v_mfma_f32_16x16x32_fp8_fp8 v[148:151], a[70:71], a[22:23], v[148:151]// 000000009460: D3F30094 1E522D46
	v_mfma_f32_16x16x32_fp8_fp8 v[156:159], a[72:73], a[16:17], v[156:159]// 000000009468: D3F3009C 1E722148
	buffer_load_dwordx4 a[180:183], v45, s[84:87], 0 offen offset:1024// 000000009470: E05C1400 8095B42D
	v_mfma_f32_16x16x32_fp8_fp8 v[156:159], a[74:75], a[18:19], v[156:159]// 000000009478: D3F3009C 1E72254A
	v_mfma_f32_16x16x32_fp8_fp8 v[156:159], a[76:77], a[20:21], v[156:159]// 000000009480: D3F3009C 1E72294C
	v_mfma_f32_16x16x32_fp8_fp8 v[156:159], a[78:79], a[22:23], v[156:159]// 000000009488: D3F3009C 1E722D4E
	v_mfma_f32_16x16x32_fp8_fp8 v[164:167], a[80:81], a[16:17], v[164:167]// 000000009490: D3F300A4 1E922150
	buffer_load_dwordx4 a[184:187], v46, s[84:87], 0 offen     // 000000009498: E05C1000 8095B82E
	v_mfma_f32_16x16x32_fp8_fp8 v[164:167], a[82:83], a[18:19], v[164:167]// 0000000094A0: D3F300A4 1E922552
	v_mfma_f32_16x16x32_fp8_fp8 v[164:167], a[84:85], a[20:21], v[164:167]// 0000000094A8: D3F300A4 1E922954
	v_mfma_f32_16x16x32_fp8_fp8 v[164:167], a[86:87], a[22:23], v[164:167]// 0000000094B0: D3F300A4 1E922D56
	v_mfma_f32_16x16x32_fp8_fp8 v[172:175], a[88:89], a[16:17], v[172:175]// 0000000094B8: D3F300AC 1EB22158
	buffer_load_dwordx4 a[188:191], v46, s[84:87], 0 offen offset:1024// 0000000094C0: E05C1400 8095BC2E
	v_mfma_f32_16x16x32_fp8_fp8 v[172:175], a[90:91], a[18:19], v[172:175]// 0000000094C8: D3F300AC 1EB2255A
	v_mfma_f32_16x16x32_fp8_fp8 v[172:175], a[92:93], a[20:21], v[172:175]// 0000000094D0: D3F300AC 1EB2295C
	v_mfma_f32_16x16x32_fp8_fp8 v[172:175], a[94:95], a[22:23], v[172:175]// 0000000094D8: D3F300AC 1EB22D5E
	v_mfma_f32_16x16x32_fp8_fp8 v[120:123], a[32:33], a[24:25], v[120:123]// 0000000094E0: D3F30078 1DE23120
	buffer_load_dwordx4 a[192:195], v47, s[84:87], 0 offen     // 0000000094E8: E05C1000 8095C02F
	v_mfma_f32_16x16x32_fp8_fp8 v[120:123], a[34:35], a[26:27], v[120:123]// 0000000094F0: D3F30078 1DE23522
	v_mfma_f32_16x16x32_fp8_fp8 v[120:123], a[36:37], a[28:29], v[120:123]// 0000000094F8: D3F30078 1DE23924
	v_mfma_f32_16x16x32_fp8_fp8 v[120:123], a[38:39], a[30:31], v[120:123]// 000000009500: D3F30078 1DE23D26
	v_mfma_f32_16x16x32_fp8_fp8 v[128:131], a[40:41], a[24:25], v[128:131]// 000000009508: D3F30080 1E023128
	buffer_load_dwordx4 a[196:199], v47, s[84:87], 0 offen offset:1024// 000000009510: E05C1400 8095C42F
	v_mfma_f32_16x16x32_fp8_fp8 v[128:131], a[42:43], a[26:27], v[128:131]// 000000009518: D3F30080 1E02352A
	v_mfma_f32_16x16x32_fp8_fp8 v[128:131], a[44:45], a[28:29], v[128:131]// 000000009520: D3F30080 1E02392C
	v_mfma_f32_16x16x32_fp8_fp8 v[128:131], a[46:47], a[30:31], v[128:131]// 000000009528: D3F30080 1E023D2E
	v_mfma_f32_16x16x32_fp8_fp8 v[136:139], a[48:49], a[24:25], v[136:139]// 000000009530: D3F30088 1E223130
	buffer_load_dwordx4 a[200:203], v48, s[84:87], 0 offen     // 000000009538: E05C1000 8095C830
	v_mfma_f32_16x16x32_fp8_fp8 v[136:139], a[50:51], a[26:27], v[136:139]// 000000009540: D3F30088 1E223532
	v_mfma_f32_16x16x32_fp8_fp8 v[136:139], a[52:53], a[28:29], v[136:139]// 000000009548: D3F30088 1E223934
	v_mfma_f32_16x16x32_fp8_fp8 v[136:139], a[54:55], a[30:31], v[136:139]// 000000009550: D3F30088 1E223D36
	v_mfma_f32_16x16x32_fp8_fp8 v[144:147], a[56:57], a[24:25], v[144:147]// 000000009558: D3F30090 1E423138
	buffer_load_dwordx4 a[204:207], v48, s[84:87], 0 offen offset:1024// 000000009560: E05C1400 8095CC30
	v_mfma_f32_16x16x32_fp8_fp8 v[144:147], a[58:59], a[26:27], v[144:147]// 000000009568: D3F30090 1E42353A
	v_mfma_f32_16x16x32_fp8_fp8 v[144:147], a[60:61], a[28:29], v[144:147]// 000000009570: D3F30090 1E42393C
	v_mfma_f32_16x16x32_fp8_fp8 v[144:147], a[62:63], a[30:31], v[144:147]// 000000009578: D3F30090 1E423D3E
	v_mfma_f32_16x16x32_fp8_fp8 v[152:155], a[64:65], a[24:25], v[152:155]// 000000009580: D3F30098 1E623140
	buffer_load_dwordx4 a[208:211], v49, s[84:87], 0 offen     // 000000009588: E05C1000 8095D031
	v_mfma_f32_16x16x32_fp8_fp8 v[152:155], a[66:67], a[26:27], v[152:155]// 000000009590: D3F30098 1E623542
	v_mfma_f32_16x16x32_fp8_fp8 v[152:155], a[68:69], a[28:29], v[152:155]// 000000009598: D3F30098 1E623944
	v_mfma_f32_16x16x32_fp8_fp8 v[152:155], a[70:71], a[30:31], v[152:155]// 0000000095A0: D3F30098 1E623D46
	v_mfma_f32_16x16x32_fp8_fp8 v[160:163], a[72:73], a[24:25], v[160:163]// 0000000095A8: D3F300A0 1E823148
	buffer_load_dwordx4 a[212:215], v49, s[84:87], 0 offen offset:1024// 0000000095B0: E05C1400 8095D431
	v_mfma_f32_16x16x32_fp8_fp8 v[160:163], a[74:75], a[26:27], v[160:163]// 0000000095B8: D3F300A0 1E82354A
	v_mfma_f32_16x16x32_fp8_fp8 v[160:163], a[76:77], a[28:29], v[160:163]// 0000000095C0: D3F300A0 1E82394C
	v_mfma_f32_16x16x32_fp8_fp8 v[160:163], a[78:79], a[30:31], v[160:163]// 0000000095C8: D3F300A0 1E823D4E
	v_mfma_f32_16x16x32_fp8_fp8 v[168:171], a[80:81], a[24:25], v[168:171]// 0000000095D0: D3F300A8 1EA23150
	buffer_load_dwordx4 a[216:219], v50, s[84:87], 0 offen     // 0000000095D8: E05C1000 8095D832
	s_add_u32 s60, 0x180, s80                                  // 0000000095E0: 803C50FF 00000180
	s_cmp_lt_u32 s60, s81                                      // 0000000095E8: BF0A513C
	s_cselect_b32 s57, s57, 0                                  // 0000000095EC: 85398039
	v_mfma_f32_16x16x32_fp8_fp8 v[168:171], a[82:83], a[26:27], v[168:171]// 0000000095F0: D3F300A8 1EA23552
	s_add_u32 s60, 0x100, s80                                  // 0000000095F8: 803C50FF 00000100
	s_cmp_lt_u32 s60, s81                                      // 000000009600: BF0A513C
	s_cselect_b32 s58, s58, 0                                  // 000000009604: 853A803A
	v_mfma_f32_16x16x32_fp8_fp8 v[168:171], a[84:85], a[28:29], v[168:171]// 000000009608: D3F300A8 1EA23954
	s_add_u32 s60, 0x100, s80                                  // 000000009610: 803C50FF 00000100
	s_cmp_lt_u32 s60, s81                                      // 000000009618: BF0A513C
	s_cselect_b32 s83, s83, 0                                  // 00000000961C: 85538053
	v_mfma_f32_16x16x32_fp8_fp8 v[168:171], a[86:87], a[30:31], v[168:171]// 000000009620: D3F300A8 1EA23D56
	s_add_u32 s24, s58, s24                                    // 000000009628: 8018183A
	s_addc_u32 s25, 0, s25                                     // 00000000962C: 82191980
	v_mfma_f32_16x16x32_fp8_fp8 v[176:179], a[88:89], a[24:25], v[176:179]// 000000009630: D3F300B0 1EC23158
	buffer_load_dwordx4 a[220:223], v50, s[84:87], 0 offen offset:1024// 000000009638: E05C1400 8095DC32
	s_add_u32 s20, s57, s20                                    // 000000009640: 80141439
	s_addc_u32 s21, 0, s21                                     // 000000009644: 82151580
	v_mfma_f32_16x16x32_fp8_fp8 v[176:179], a[90:91], a[26:27], v[176:179]// 000000009648: D3F300B0 1EC2355A
	s_add_u32 s84, s83, s84                                    // 000000009650: 80545453
	s_addc_u32 s85, 0, s85                                     // 000000009654: 82555580
	v_mfma_f32_16x16x32_fp8_fp8 v[176:179], a[92:93], a[28:29], v[176:179]// 000000009658: D3F300B0 1EC2395C
	v_mfma_f32_16x16x32_fp8_fp8 v[176:179], a[94:95], a[30:31], v[176:179]// 000000009660: D3F300B0 1EC23D5E
	s_addk_i32 s80, 0x80                                       // 000000009668: B7500080
	s_cmp_lt_i32 s80, s81                                      // 00000000966C: BF045150
	s_cbranch_scc0 label_20DD                                  // 000000009670: BF8405BD
	s_waitcnt vmcnt(20) lgkmcnt(0)                             // 000000009674: BF8C4074
	v_mfma_f32_16x16x32_fp8_fp8 v[52:55], a[96:97], a[0:1], v[52:55]// 000000009678: D3F30034 1CD20160
	buffer_load_dwordx4 a[32:35], v43, s[24:27], 0 offen       // 000000009680: E05C1000 8086202B
	v_mfma_f32_16x16x32_fp8_fp8 v[52:55], a[98:99], a[2:3], v[52:55]// 000000009688: D3F30034 1CD20562
	v_mfma_f32_16x16x32_fp8_fp8 v[52:55], a[100:101], a[4:5], v[52:55]// 000000009690: D3F30034 1CD20964
	v_mfma_f32_16x16x32_fp8_fp8 v[52:55], a[102:103], a[6:7], v[52:55]// 000000009698: D3F30034 1CD20D66
	v_mfma_f32_16x16x32_fp8_fp8 v[60:63], a[104:105], a[0:1], v[60:63]// 0000000096A0: D3F3003C 1CF20168
	buffer_load_dwordx4 a[36:39], v43, s[24:27], 0 offen offset:1024// 0000000096A8: E05C1400 8086242B
	v_mfma_f32_16x16x32_fp8_fp8 v[60:63], a[106:107], a[2:3], v[60:63]// 0000000096B0: D3F3003C 1CF2056A
	v_mfma_f32_16x16x32_fp8_fp8 v[60:63], a[108:109], a[4:5], v[60:63]// 0000000096B8: D3F3003C 1CF2096C
	v_mfma_f32_16x16x32_fp8_fp8 v[60:63], a[110:111], a[6:7], v[60:63]// 0000000096C0: D3F3003C 1CF20D6E
	v_mfma_f32_16x16x32_fp8_fp8 v[68:71], a[112:113], a[0:1], v[68:71]// 0000000096C8: D3F30044 1D120170
	buffer_load_dwordx4 a[40:43], v44, s[24:27], 0 offen       // 0000000096D0: E05C1000 8086282C
	v_mfma_f32_16x16x32_fp8_fp8 v[68:71], a[114:115], a[2:3], v[68:71]// 0000000096D8: D3F30044 1D120572
	v_mfma_f32_16x16x32_fp8_fp8 v[68:71], a[116:117], a[4:5], v[68:71]// 0000000096E0: D3F30044 1D120974
	v_mfma_f32_16x16x32_fp8_fp8 v[68:71], a[118:119], a[6:7], v[68:71]// 0000000096E8: D3F30044 1D120D76
	v_mfma_f32_16x16x32_fp8_fp8 v[76:79], a[120:121], a[0:1], v[76:79]// 0000000096F0: D3F3004C 1D320178
	buffer_load_dwordx4 a[44:47], v44, s[24:27], 0 offen offset:1024// 0000000096F8: E05C1400 80862C2C
	v_mfma_f32_16x16x32_fp8_fp8 v[76:79], a[122:123], a[2:3], v[76:79]// 000000009700: D3F3004C 1D32057A
	v_mfma_f32_16x16x32_fp8_fp8 v[76:79], a[124:125], a[4:5], v[76:79]// 000000009708: D3F3004C 1D32097C
	v_mfma_f32_16x16x32_fp8_fp8 v[76:79], a[126:127], a[6:7], v[76:79]// 000000009710: D3F3004C 1D320D7E
	v_mfma_f32_16x16x32_fp8_fp8 v[84:87], a[128:129], a[0:1], v[84:87]// 000000009718: D3F30054 1D520180
	buffer_load_dwordx4 a[48:51], v45, s[24:27], 0 offen       // 000000009720: E05C1000 8086302D
	v_mfma_f32_16x16x32_fp8_fp8 v[84:87], a[130:131], a[2:3], v[84:87]// 000000009728: D3F30054 1D520582
	v_mfma_f32_16x16x32_fp8_fp8 v[84:87], a[132:133], a[4:5], v[84:87]// 000000009730: D3F30054 1D520984
	v_mfma_f32_16x16x32_fp8_fp8 v[84:87], a[134:135], a[6:7], v[84:87]// 000000009738: D3F30054 1D520D86
	v_mfma_f32_16x16x32_fp8_fp8 v[92:95], a[136:137], a[0:1], v[92:95]// 000000009740: D3F3005C 1D720188
	buffer_load_dwordx4 a[52:55], v45, s[24:27], 0 offen offset:1024// 000000009748: E05C1400 8086342D
	v_mfma_f32_16x16x32_fp8_fp8 v[92:95], a[138:139], a[2:3], v[92:95]// 000000009750: D3F3005C 1D72058A
	v_mfma_f32_16x16x32_fp8_fp8 v[92:95], a[140:141], a[4:5], v[92:95]// 000000009758: D3F3005C 1D72098C
	v_mfma_f32_16x16x32_fp8_fp8 v[92:95], a[142:143], a[6:7], v[92:95]// 000000009760: D3F3005C 1D720D8E
	v_mfma_f32_16x16x32_fp8_fp8 v[100:103], a[144:145], a[0:1], v[100:103]// 000000009768: D3F30064 1D920190
	buffer_load_dwordx4 a[56:59], v46, s[24:27], 0 offen       // 000000009770: E05C1000 8086382E
	v_mfma_f32_16x16x32_fp8_fp8 v[100:103], a[146:147], a[2:3], v[100:103]// 000000009778: D3F30064 1D920592
	v_mfma_f32_16x16x32_fp8_fp8 v[100:103], a[148:149], a[4:5], v[100:103]// 000000009780: D3F30064 1D920994
	v_mfma_f32_16x16x32_fp8_fp8 v[100:103], a[150:151], a[6:7], v[100:103]// 000000009788: D3F30064 1D920D96
	v_mfma_f32_16x16x32_fp8_fp8 v[108:111], a[152:153], a[0:1], v[108:111]// 000000009790: D3F3006C 1DB20198
	buffer_load_dwordx4 a[60:63], v46, s[24:27], 0 offen offset:1024// 000000009798: E05C1400 80863C2E
	v_mfma_f32_16x16x32_fp8_fp8 v[108:111], a[154:155], a[2:3], v[108:111]// 0000000097A0: D3F3006C 1DB2059A
	v_mfma_f32_16x16x32_fp8_fp8 v[108:111], a[156:157], a[4:5], v[108:111]// 0000000097A8: D3F3006C 1DB2099C
	v_mfma_f32_16x16x32_fp8_fp8 v[108:111], a[158:159], a[6:7], v[108:111]// 0000000097B0: D3F3006C 1DB20D9E
	v_mfma_f32_16x16x32_fp8_fp8 v[56:59], a[96:97], a[8:9], v[56:59]// 0000000097B8: D3F30038 1CE21160
	buffer_load_dwordx4 a[64:67], v47, s[24:27], 0 offen       // 0000000097C0: E05C1000 8086402F
	v_mfma_f32_16x16x32_fp8_fp8 v[56:59], a[98:99], a[10:11], v[56:59]// 0000000097C8: D3F30038 1CE21562
	v_mfma_f32_16x16x32_fp8_fp8 v[56:59], a[100:101], a[12:13], v[56:59]// 0000000097D0: D3F30038 1CE21964
	v_mfma_f32_16x16x32_fp8_fp8 v[56:59], a[102:103], a[14:15], v[56:59]// 0000000097D8: D3F30038 1CE21D66
	v_mfma_f32_16x16x32_fp8_fp8 v[64:67], a[104:105], a[8:9], v[64:67]// 0000000097E0: D3F30040 1D021168
	buffer_load_dwordx4 a[68:71], v47, s[24:27], 0 offen offset:1024// 0000000097E8: E05C1400 8086442F
	v_mfma_f32_16x16x32_fp8_fp8 v[64:67], a[106:107], a[10:11], v[64:67]// 0000000097F0: D3F30040 1D02156A
	v_mfma_f32_16x16x32_fp8_fp8 v[64:67], a[108:109], a[12:13], v[64:67]// 0000000097F8: D3F30040 1D02196C
	v_mfma_f32_16x16x32_fp8_fp8 v[64:67], a[110:111], a[14:15], v[64:67]// 000000009800: D3F30040 1D021D6E
	v_mfma_f32_16x16x32_fp8_fp8 v[72:75], a[112:113], a[8:9], v[72:75]// 000000009808: D3F30048 1D221170
	buffer_load_dwordx4 a[72:75], v48, s[24:27], 0 offen       // 000000009810: E05C1000 80864830
	v_mfma_f32_16x16x32_fp8_fp8 v[72:75], a[114:115], a[10:11], v[72:75]// 000000009818: D3F30048 1D221572
	v_mfma_f32_16x16x32_fp8_fp8 v[72:75], a[116:117], a[12:13], v[72:75]// 000000009820: D3F30048 1D221974
	v_mfma_f32_16x16x32_fp8_fp8 v[72:75], a[118:119], a[14:15], v[72:75]// 000000009828: D3F30048 1D221D76
	v_mfma_f32_16x16x32_fp8_fp8 v[80:83], a[120:121], a[8:9], v[80:83]// 000000009830: D3F30050 1D421178
	buffer_load_dwordx4 a[76:79], v48, s[24:27], 0 offen offset:1024// 000000009838: E05C1400 80864C30
	v_mfma_f32_16x16x32_fp8_fp8 v[80:83], a[122:123], a[10:11], v[80:83]// 000000009840: D3F30050 1D42157A
	v_mfma_f32_16x16x32_fp8_fp8 v[80:83], a[124:125], a[12:13], v[80:83]// 000000009848: D3F30050 1D42197C
	v_mfma_f32_16x16x32_fp8_fp8 v[80:83], a[126:127], a[14:15], v[80:83]// 000000009850: D3F30050 1D421D7E
	v_mfma_f32_16x16x32_fp8_fp8 v[88:91], a[128:129], a[8:9], v[88:91]// 000000009858: D3F30058 1D621180
	buffer_load_dwordx4 a[80:83], v49, s[24:27], 0 offen       // 000000009860: E05C1000 80865031
	v_mfma_f32_16x16x32_fp8_fp8 v[88:91], a[130:131], a[10:11], v[88:91]// 000000009868: D3F30058 1D621582
	v_mfma_f32_16x16x32_fp8_fp8 v[88:91], a[132:133], a[12:13], v[88:91]// 000000009870: D3F30058 1D621984
	v_mfma_f32_16x16x32_fp8_fp8 v[88:91], a[134:135], a[14:15], v[88:91]// 000000009878: D3F30058 1D621D86
	v_mfma_f32_16x16x32_fp8_fp8 v[96:99], a[136:137], a[8:9], v[96:99]// 000000009880: D3F30060 1D821188
	buffer_load_dwordx4 a[84:87], v49, s[24:27], 0 offen offset:1024// 000000009888: E05C1400 80865431
	v_mfma_f32_16x16x32_fp8_fp8 v[96:99], a[138:139], a[10:11], v[96:99]// 000000009890: D3F30060 1D82158A
	v_mfma_f32_16x16x32_fp8_fp8 v[96:99], a[140:141], a[12:13], v[96:99]// 000000009898: D3F30060 1D82198C
	v_mfma_f32_16x16x32_fp8_fp8 v[96:99], a[142:143], a[14:15], v[96:99]// 0000000098A0: D3F30060 1D821D8E
	v_mfma_f32_16x16x32_fp8_fp8 v[104:107], a[144:145], a[8:9], v[104:107]// 0000000098A8: D3F30068 1DA21190
	buffer_load_dwordx4 a[88:91], v50, s[24:27], 0 offen       // 0000000098B0: E05C1000 80865832
	v_mfma_f32_16x16x32_fp8_fp8 v[104:107], a[146:147], a[10:11], v[104:107]// 0000000098B8: D3F30068 1DA21592
	v_mfma_f32_16x16x32_fp8_fp8 v[104:107], a[148:149], a[12:13], v[104:107]// 0000000098C0: D3F30068 1DA21994
	v_mfma_f32_16x16x32_fp8_fp8 v[104:107], a[150:151], a[14:15], v[104:107]// 0000000098C8: D3F30068 1DA21D96
	v_mfma_f32_16x16x32_fp8_fp8 v[112:115], a[152:153], a[8:9], v[112:115]// 0000000098D0: D3F30070 1DC21198
	buffer_load_dwordx4 a[92:95], v50, s[24:27], 0 offen offset:1024// 0000000098D8: E05C1400 80865C32
	buffer_load_dword v39, s[20:23], 0 offen lds               // 0000000098E0: E0511000 80050027
	s_add_u32 m0, 0x100, s49                                   // 0000000098E8: 807C31FF 00000100
	v_mfma_f32_16x16x32_fp8_fp8 v[112:115], a[154:155], a[10:11], v[112:115]// 0000000098F0: D3F30070 1DC2159A
	v_mfma_f32_16x16x32_fp8_fp8 v[112:115], a[156:157], a[12:13], v[112:115]// 0000000098F8: D3F30070 1DC2199C
	buffer_load_dword v40, s[20:23], 0 offen lds               // 000000009900: E0511000 80050028
	s_add_u32 m0, 0x200, s49                                   // 000000009908: 807C31FF 00000200
	v_mfma_f32_16x16x32_fp8_fp8 v[112:115], a[158:159], a[14:15], v[112:115]// 000000009910: D3F30070 1DC21D9E
	buffer_load_dword v41, s[20:23], 0 offen lds               // 000000009918: E0511000 80050029
	s_add_u32 m0, 0x300, s49                                   // 000000009920: 807C31FF 00000300
	buffer_load_dword v42, s[20:23], 0 offen lds               // 000000009928: E0511000 8005002A
	s_add_u32 m0, 0, s50                                       // 000000009930: 807C3280
	s_waitcnt vmcnt(20)                                        // 000000009934: BF8C4F74
	s_barrier                                                  // 000000009938: BF8A0000
	v_mfma_f32_16x16x32_fp8_fp8 v[116:119], a[160:161], a[0:1], v[116:119]// 00000000993C: D3F30074 1DD201A0
	buffer_load_dwordx4 a[96:99], v43, s[84:87], 0 offen       // 000000009944: E05C1000 8095602B
	v_mfma_f32_16x16x32_fp8_fp8 v[116:119], a[162:163], a[2:3], v[116:119]// 00000000994C: D3F30074 1DD205A2
	v_mfma_f32_16x16x32_fp8_fp8 v[116:119], a[164:165], a[4:5], v[116:119]// 000000009954: D3F30074 1DD209A4
	ds_read_b128 a[16:19], v2                                  // 00000000995C: DBFE0000 10000002
	ds_read_b128 a[20:23], v2 offset:64                        // 000000009964: DBFE0040 14000002
	v_mfma_f32_16x16x32_fp8_fp8 v[116:119], a[166:167], a[6:7], v[116:119]// 00000000996C: D3F30074 1DD20DA6
	v_mfma_f32_16x16x32_fp8_fp8 v[124:127], a[168:169], a[0:1], v[124:127]// 000000009974: D3F3007C 1DF201A8
	buffer_load_dwordx4 a[100:103], v43, s[84:87], 0 offen offset:1024// 00000000997C: E05C1400 8095642B
	v_mfma_f32_16x16x32_fp8_fp8 v[124:127], a[170:171], a[2:3], v[124:127]// 000000009984: D3F3007C 1DF205AA
	v_mfma_f32_16x16x32_fp8_fp8 v[124:127], a[172:173], a[4:5], v[124:127]// 00000000998C: D3F3007C 1DF209AC
	ds_read_b128 a[24:27], v2 offset:512                       // 000000009994: DBFE0200 18000002
	ds_read_b128 a[28:31], v2 offset:576                       // 00000000999C: DBFE0240 1C000002
	v_mfma_f32_16x16x32_fp8_fp8 v[124:127], a[174:175], a[6:7], v[124:127]// 0000000099A4: D3F3007C 1DF20DAE
	v_mfma_f32_16x16x32_fp8_fp8 v[132:135], a[176:177], a[0:1], v[132:135]// 0000000099AC: D3F30084 1E1201B0
	buffer_load_dwordx4 a[104:107], v44, s[84:87], 0 offen     // 0000000099B4: E05C1000 8095682C
	v_mfma_f32_16x16x32_fp8_fp8 v[132:135], a[178:179], a[2:3], v[132:135]// 0000000099BC: D3F30084 1E1205B2
	v_mfma_f32_16x16x32_fp8_fp8 v[132:135], a[180:181], a[4:5], v[132:135]// 0000000099C4: D3F30084 1E1209B4
	v_mfma_f32_16x16x32_fp8_fp8 v[132:135], a[182:183], a[6:7], v[132:135]// 0000000099CC: D3F30084 1E120DB6
	v_mfma_f32_16x16x32_fp8_fp8 v[140:143], a[184:185], a[0:1], v[140:143]// 0000000099D4: D3F3008C 1E3201B8
	buffer_load_dwordx4 a[108:111], v44, s[84:87], 0 offen offset:1024// 0000000099DC: E05C1400 80956C2C
	v_mfma_f32_16x16x32_fp8_fp8 v[140:143], a[186:187], a[2:3], v[140:143]// 0000000099E4: D3F3008C 1E3205BA
	v_mfma_f32_16x16x32_fp8_fp8 v[140:143], a[188:189], a[4:5], v[140:143]// 0000000099EC: D3F3008C 1E3209BC
	v_mfma_f32_16x16x32_fp8_fp8 v[140:143], a[190:191], a[6:7], v[140:143]// 0000000099F4: D3F3008C 1E320DBE
	v_mfma_f32_16x16x32_fp8_fp8 v[148:151], a[192:193], a[0:1], v[148:151]// 0000000099FC: D3F30094 1E5201C0
	buffer_load_dwordx4 a[112:115], v45, s[84:87], 0 offen     // 000000009A04: E05C1000 8095702D
	v_mfma_f32_16x16x32_fp8_fp8 v[148:151], a[194:195], a[2:3], v[148:151]// 000000009A0C: D3F30094 1E5205C2
	v_mfma_f32_16x16x32_fp8_fp8 v[148:151], a[196:197], a[4:5], v[148:151]// 000000009A14: D3F30094 1E5209C4
	v_mfma_f32_16x16x32_fp8_fp8 v[148:151], a[198:199], a[6:7], v[148:151]// 000000009A1C: D3F30094 1E520DC6
	v_mfma_f32_16x16x32_fp8_fp8 v[156:159], a[200:201], a[0:1], v[156:159]// 000000009A24: D3F3009C 1E7201C8
	buffer_load_dwordx4 a[116:119], v45, s[84:87], 0 offen offset:1024// 000000009A2C: E05C1400 8095742D
	v_mfma_f32_16x16x32_fp8_fp8 v[156:159], a[202:203], a[2:3], v[156:159]// 000000009A34: D3F3009C 1E7205CA
	v_mfma_f32_16x16x32_fp8_fp8 v[156:159], a[204:205], a[4:5], v[156:159]// 000000009A3C: D3F3009C 1E7209CC
	v_mfma_f32_16x16x32_fp8_fp8 v[156:159], a[206:207], a[6:7], v[156:159]// 000000009A44: D3F3009C 1E720DCE
	v_mfma_f32_16x16x32_fp8_fp8 v[164:167], a[208:209], a[0:1], v[164:167]// 000000009A4C: D3F300A4 1E9201D0
	buffer_load_dwordx4 a[120:123], v46, s[84:87], 0 offen     // 000000009A54: E05C1000 8095782E
	v_mfma_f32_16x16x32_fp8_fp8 v[164:167], a[210:211], a[2:3], v[164:167]// 000000009A5C: D3F300A4 1E9205D2
	v_mfma_f32_16x16x32_fp8_fp8 v[164:167], a[212:213], a[4:5], v[164:167]// 000000009A64: D3F300A4 1E9209D4
	v_mfma_f32_16x16x32_fp8_fp8 v[164:167], a[214:215], a[6:7], v[164:167]// 000000009A6C: D3F300A4 1E920DD6
	v_mfma_f32_16x16x32_fp8_fp8 v[172:175], a[216:217], a[0:1], v[172:175]// 000000009A74: D3F300AC 1EB201D8
	buffer_load_dwordx4 a[124:127], v46, s[84:87], 0 offen offset:1024// 000000009A7C: E05C1400 80957C2E
	v_mfma_f32_16x16x32_fp8_fp8 v[172:175], a[218:219], a[2:3], v[172:175]// 000000009A84: D3F300AC 1EB205DA
	v_mfma_f32_16x16x32_fp8_fp8 v[172:175], a[220:221], a[4:5], v[172:175]// 000000009A8C: D3F300AC 1EB209DC
	v_mfma_f32_16x16x32_fp8_fp8 v[172:175], a[222:223], a[6:7], v[172:175]// 000000009A94: D3F300AC 1EB20DDE
	v_mfma_f32_16x16x32_fp8_fp8 v[120:123], a[160:161], a[8:9], v[120:123]// 000000009A9C: D3F30078 1DE211A0
	buffer_load_dwordx4 a[128:131], v47, s[84:87], 0 offen     // 000000009AA4: E05C1000 8095802F
	v_mfma_f32_16x16x32_fp8_fp8 v[120:123], a[162:163], a[10:11], v[120:123]// 000000009AAC: D3F30078 1DE215A2
	v_mfma_f32_16x16x32_fp8_fp8 v[120:123], a[164:165], a[12:13], v[120:123]// 000000009AB4: D3F30078 1DE219A4
	v_mfma_f32_16x16x32_fp8_fp8 v[120:123], a[166:167], a[14:15], v[120:123]// 000000009ABC: D3F30078 1DE21DA6
	v_mfma_f32_16x16x32_fp8_fp8 v[128:131], a[168:169], a[8:9], v[128:131]// 000000009AC4: D3F30080 1E0211A8
	buffer_load_dwordx4 a[132:135], v47, s[84:87], 0 offen offset:1024// 000000009ACC: E05C1400 8095842F
	v_mfma_f32_16x16x32_fp8_fp8 v[128:131], a[170:171], a[10:11], v[128:131]// 000000009AD4: D3F30080 1E0215AA
	v_mfma_f32_16x16x32_fp8_fp8 v[128:131], a[172:173], a[12:13], v[128:131]// 000000009ADC: D3F30080 1E0219AC
	v_mfma_f32_16x16x32_fp8_fp8 v[128:131], a[174:175], a[14:15], v[128:131]// 000000009AE4: D3F30080 1E021DAE
	v_mfma_f32_16x16x32_fp8_fp8 v[136:139], a[176:177], a[8:9], v[136:139]// 000000009AEC: D3F30088 1E2211B0
	buffer_load_dwordx4 a[136:139], v48, s[84:87], 0 offen     // 000000009AF4: E05C1000 80958830
	v_mfma_f32_16x16x32_fp8_fp8 v[136:139], a[178:179], a[10:11], v[136:139]// 000000009AFC: D3F30088 1E2215B2
	v_mfma_f32_16x16x32_fp8_fp8 v[136:139], a[180:181], a[12:13], v[136:139]// 000000009B04: D3F30088 1E2219B4
	v_mfma_f32_16x16x32_fp8_fp8 v[136:139], a[182:183], a[14:15], v[136:139]// 000000009B0C: D3F30088 1E221DB6
	v_mfma_f32_16x16x32_fp8_fp8 v[144:147], a[184:185], a[8:9], v[144:147]// 000000009B14: D3F30090 1E4211B8
	buffer_load_dwordx4 a[140:143], v48, s[84:87], 0 offen offset:1024// 000000009B1C: E05C1400 80958C30
	v_mfma_f32_16x16x32_fp8_fp8 v[144:147], a[186:187], a[10:11], v[144:147]// 000000009B24: D3F30090 1E4215BA
	v_mfma_f32_16x16x32_fp8_fp8 v[144:147], a[188:189], a[12:13], v[144:147]// 000000009B2C: D3F30090 1E4219BC
	v_mfma_f32_16x16x32_fp8_fp8 v[144:147], a[190:191], a[14:15], v[144:147]// 000000009B34: D3F30090 1E421DBE
	v_mfma_f32_16x16x32_fp8_fp8 v[152:155], a[192:193], a[8:9], v[152:155]// 000000009B3C: D3F30098 1E6211C0
	buffer_load_dwordx4 a[144:147], v49, s[84:87], 0 offen     // 000000009B44: E05C1000 80959031
	v_mfma_f32_16x16x32_fp8_fp8 v[152:155], a[194:195], a[10:11], v[152:155]// 000000009B4C: D3F30098 1E6215C2
	v_mfma_f32_16x16x32_fp8_fp8 v[152:155], a[196:197], a[12:13], v[152:155]// 000000009B54: D3F30098 1E6219C4
	v_mfma_f32_16x16x32_fp8_fp8 v[152:155], a[198:199], a[14:15], v[152:155]// 000000009B5C: D3F30098 1E621DC6
	v_mfma_f32_16x16x32_fp8_fp8 v[160:163], a[200:201], a[8:9], v[160:163]// 000000009B64: D3F300A0 1E8211C8
	buffer_load_dwordx4 a[148:151], v49, s[84:87], 0 offen offset:1024// 000000009B6C: E05C1400 80959431
	v_mfma_f32_16x16x32_fp8_fp8 v[160:163], a[202:203], a[10:11], v[160:163]// 000000009B74: D3F300A0 1E8215CA
	v_mfma_f32_16x16x32_fp8_fp8 v[160:163], a[204:205], a[12:13], v[160:163]// 000000009B7C: D3F300A0 1E8219CC
	v_mfma_f32_16x16x32_fp8_fp8 v[160:163], a[206:207], a[14:15], v[160:163]// 000000009B84: D3F300A0 1E821DCE
	v_mfma_f32_16x16x32_fp8_fp8 v[168:171], a[208:209], a[8:9], v[168:171]// 000000009B8C: D3F300A8 1EA211D0
	buffer_load_dwordx4 a[152:155], v50, s[84:87], 0 offen     // 000000009B94: E05C1000 80959832
	s_add_u32 s60, 0x180, s80                                  // 000000009B9C: 803C50FF 00000180
	s_cmp_lt_u32 s60, s81                                      // 000000009BA4: BF0A513C
	s_cselect_b32 s57, s57, 0                                  // 000000009BA8: 85398039
	v_mfma_f32_16x16x32_fp8_fp8 v[168:171], a[210:211], a[10:11], v[168:171]// 000000009BAC: D3F300A8 1EA215D2
	s_add_u32 s60, 0x100, s80                                  // 000000009BB4: 803C50FF 00000100
	s_cmp_lt_u32 s60, s81                                      // 000000009BBC: BF0A513C
	s_cselect_b32 s58, s58, 0                                  // 000000009BC0: 853A803A
	v_mfma_f32_16x16x32_fp8_fp8 v[168:171], a[212:213], a[12:13], v[168:171]// 000000009BC4: D3F300A8 1EA219D4
	s_add_u32 s60, 0x100, s80                                  // 000000009BCC: 803C50FF 00000100
	s_cmp_lt_u32 s60, s81                                      // 000000009BD4: BF0A513C
	s_cselect_b32 s83, s83, 0                                  // 000000009BD8: 85538053
	v_mfma_f32_16x16x32_fp8_fp8 v[168:171], a[214:215], a[14:15], v[168:171]// 000000009BDC: D3F300A8 1EA21DD6
	s_add_u32 s24, s58, s24                                    // 000000009BE4: 8018183A
	s_addc_u32 s25, 0, s25                                     // 000000009BE8: 82191980
	v_mfma_f32_16x16x32_fp8_fp8 v[176:179], a[216:217], a[8:9], v[176:179]// 000000009BEC: D3F300B0 1EC211D8
	buffer_load_dwordx4 a[156:159], v50, s[84:87], 0 offen offset:1024// 000000009BF4: E05C1400 80959C32
	s_add_u32 s20, s57, s20                                    // 000000009BFC: 80141439
	s_addc_u32 s21, 0, s21                                     // 000000009C00: 82151580
	v_mfma_f32_16x16x32_fp8_fp8 v[176:179], a[218:219], a[10:11], v[176:179]// 000000009C04: D3F300B0 1EC215DA
	s_add_u32 s84, s83, s84                                    // 000000009C0C: 80545453
	s_addc_u32 s85, 0, s85                                     // 000000009C10: 82555580
	v_mfma_f32_16x16x32_fp8_fp8 v[176:179], a[220:221], a[12:13], v[176:179]// 000000009C14: D3F300B0 1EC219DC
	v_mfma_f32_16x16x32_fp8_fp8 v[176:179], a[222:223], a[14:15], v[176:179]// 000000009C1C: D3F300B0 1EC21DDE
	s_addk_i32 s80, 0x80                                       // 000000009C24: B7500080
	s_cmp_lt_i32 s80, s81                                      // 000000009C28: BF045150
	s_cbranch_scc0 label_20DD                                  // 000000009C2C: BF84044E
	s_waitcnt vmcnt(20) lgkmcnt(0)                             // 000000009C30: BF8C4074
	v_mfma_f32_16x16x32_fp8_fp8 v[52:55], a[32:33], a[16:17], v[52:55]// 000000009C34: D3F30034 1CD22120
	buffer_load_dwordx4 a[160:163], v43, s[24:27], 0 offen     // 000000009C3C: E05C1000 8086A02B
	v_mfma_f32_16x16x32_fp8_fp8 v[52:55], a[34:35], a[18:19], v[52:55]// 000000009C44: D3F30034 1CD22522
	v_mfma_f32_16x16x32_fp8_fp8 v[52:55], a[36:37], a[20:21], v[52:55]// 000000009C4C: D3F30034 1CD22924
	v_mfma_f32_16x16x32_fp8_fp8 v[52:55], a[38:39], a[22:23], v[52:55]// 000000009C54: D3F30034 1CD22D26
	v_mfma_f32_16x16x32_fp8_fp8 v[60:63], a[40:41], a[16:17], v[60:63]// 000000009C5C: D3F3003C 1CF22128
	buffer_load_dwordx4 a[164:167], v43, s[24:27], 0 offen offset:1024// 000000009C64: E05C1400 8086A42B
	v_mfma_f32_16x16x32_fp8_fp8 v[60:63], a[42:43], a[18:19], v[60:63]// 000000009C6C: D3F3003C 1CF2252A
	v_mfma_f32_16x16x32_fp8_fp8 v[60:63], a[44:45], a[20:21], v[60:63]// 000000009C74: D3F3003C 1CF2292C
	v_mfma_f32_16x16x32_fp8_fp8 v[60:63], a[46:47], a[22:23], v[60:63]// 000000009C7C: D3F3003C 1CF22D2E
	v_mfma_f32_16x16x32_fp8_fp8 v[68:71], a[48:49], a[16:17], v[68:71]// 000000009C84: D3F30044 1D122130
	buffer_load_dwordx4 a[168:171], v44, s[24:27], 0 offen     // 000000009C8C: E05C1000 8086A82C
	v_mfma_f32_16x16x32_fp8_fp8 v[68:71], a[50:51], a[18:19], v[68:71]// 000000009C94: D3F30044 1D122532
	v_mfma_f32_16x16x32_fp8_fp8 v[68:71], a[52:53], a[20:21], v[68:71]// 000000009C9C: D3F30044 1D122934
	v_mfma_f32_16x16x32_fp8_fp8 v[68:71], a[54:55], a[22:23], v[68:71]// 000000009CA4: D3F30044 1D122D36
	v_mfma_f32_16x16x32_fp8_fp8 v[76:79], a[56:57], a[16:17], v[76:79]// 000000009CAC: D3F3004C 1D322138
	buffer_load_dwordx4 a[172:175], v44, s[24:27], 0 offen offset:1024// 000000009CB4: E05C1400 8086AC2C
	v_mfma_f32_16x16x32_fp8_fp8 v[76:79], a[58:59], a[18:19], v[76:79]// 000000009CBC: D3F3004C 1D32253A
	v_mfma_f32_16x16x32_fp8_fp8 v[76:79], a[60:61], a[20:21], v[76:79]// 000000009CC4: D3F3004C 1D32293C
	v_mfma_f32_16x16x32_fp8_fp8 v[76:79], a[62:63], a[22:23], v[76:79]// 000000009CCC: D3F3004C 1D322D3E
	v_mfma_f32_16x16x32_fp8_fp8 v[84:87], a[64:65], a[16:17], v[84:87]// 000000009CD4: D3F30054 1D522140
	buffer_load_dwordx4 a[176:179], v45, s[24:27], 0 offen     // 000000009CDC: E05C1000 8086B02D
	v_mfma_f32_16x16x32_fp8_fp8 v[84:87], a[66:67], a[18:19], v[84:87]// 000000009CE4: D3F30054 1D522542
	v_mfma_f32_16x16x32_fp8_fp8 v[84:87], a[68:69], a[20:21], v[84:87]// 000000009CEC: D3F30054 1D522944
	v_mfma_f32_16x16x32_fp8_fp8 v[84:87], a[70:71], a[22:23], v[84:87]// 000000009CF4: D3F30054 1D522D46
	v_mfma_f32_16x16x32_fp8_fp8 v[92:95], a[72:73], a[16:17], v[92:95]// 000000009CFC: D3F3005C 1D722148
	buffer_load_dwordx4 a[180:183], v45, s[24:27], 0 offen offset:1024// 000000009D04: E05C1400 8086B42D
	v_mfma_f32_16x16x32_fp8_fp8 v[92:95], a[74:75], a[18:19], v[92:95]// 000000009D0C: D3F3005C 1D72254A
	v_mfma_f32_16x16x32_fp8_fp8 v[92:95], a[76:77], a[20:21], v[92:95]// 000000009D14: D3F3005C 1D72294C
	v_mfma_f32_16x16x32_fp8_fp8 v[92:95], a[78:79], a[22:23], v[92:95]// 000000009D1C: D3F3005C 1D722D4E
	v_mfma_f32_16x16x32_fp8_fp8 v[100:103], a[80:81], a[16:17], v[100:103]// 000000009D24: D3F30064 1D922150
	buffer_load_dwordx4 a[184:187], v46, s[24:27], 0 offen     // 000000009D2C: E05C1000 8086B82E
	v_mfma_f32_16x16x32_fp8_fp8 v[100:103], a[82:83], a[18:19], v[100:103]// 000000009D34: D3F30064 1D922552
	v_mfma_f32_16x16x32_fp8_fp8 v[100:103], a[84:85], a[20:21], v[100:103]// 000000009D3C: D3F30064 1D922954
	v_mfma_f32_16x16x32_fp8_fp8 v[100:103], a[86:87], a[22:23], v[100:103]// 000000009D44: D3F30064 1D922D56
	v_mfma_f32_16x16x32_fp8_fp8 v[108:111], a[88:89], a[16:17], v[108:111]// 000000009D4C: D3F3006C 1DB22158
	buffer_load_dwordx4 a[188:191], v46, s[24:27], 0 offen offset:1024// 000000009D54: E05C1400 8086BC2E
	v_mfma_f32_16x16x32_fp8_fp8 v[108:111], a[90:91], a[18:19], v[108:111]// 000000009D5C: D3F3006C 1DB2255A
	v_mfma_f32_16x16x32_fp8_fp8 v[108:111], a[92:93], a[20:21], v[108:111]// 000000009D64: D3F3006C 1DB2295C
	v_mfma_f32_16x16x32_fp8_fp8 v[108:111], a[94:95], a[22:23], v[108:111]// 000000009D6C: D3F3006C 1DB22D5E
	v_mfma_f32_16x16x32_fp8_fp8 v[56:59], a[32:33], a[24:25], v[56:59]// 000000009D74: D3F30038 1CE23120
	buffer_load_dwordx4 a[192:195], v47, s[24:27], 0 offen     // 000000009D7C: E05C1000 8086C02F
	v_mfma_f32_16x16x32_fp8_fp8 v[56:59], a[34:35], a[26:27], v[56:59]// 000000009D84: D3F30038 1CE23522
	v_mfma_f32_16x16x32_fp8_fp8 v[56:59], a[36:37], a[28:29], v[56:59]// 000000009D8C: D3F30038 1CE23924
	v_mfma_f32_16x16x32_fp8_fp8 v[56:59], a[38:39], a[30:31], v[56:59]// 000000009D94: D3F30038 1CE23D26
	v_mfma_f32_16x16x32_fp8_fp8 v[64:67], a[40:41], a[24:25], v[64:67]// 000000009D9C: D3F30040 1D023128
	buffer_load_dwordx4 a[196:199], v47, s[24:27], 0 offen offset:1024// 000000009DA4: E05C1400 8086C42F
	v_mfma_f32_16x16x32_fp8_fp8 v[64:67], a[42:43], a[26:27], v[64:67]// 000000009DAC: D3F30040 1D02352A
	v_mfma_f32_16x16x32_fp8_fp8 v[64:67], a[44:45], a[28:29], v[64:67]// 000000009DB4: D3F30040 1D02392C
	v_mfma_f32_16x16x32_fp8_fp8 v[64:67], a[46:47], a[30:31], v[64:67]// 000000009DBC: D3F30040 1D023D2E
	v_mfma_f32_16x16x32_fp8_fp8 v[72:75], a[48:49], a[24:25], v[72:75]// 000000009DC4: D3F30048 1D223130
	buffer_load_dwordx4 a[200:203], v48, s[24:27], 0 offen     // 000000009DCC: E05C1000 8086C830
	v_mfma_f32_16x16x32_fp8_fp8 v[72:75], a[50:51], a[26:27], v[72:75]// 000000009DD4: D3F30048 1D223532
	v_mfma_f32_16x16x32_fp8_fp8 v[72:75], a[52:53], a[28:29], v[72:75]// 000000009DDC: D3F30048 1D223934
	v_mfma_f32_16x16x32_fp8_fp8 v[72:75], a[54:55], a[30:31], v[72:75]// 000000009DE4: D3F30048 1D223D36
	v_mfma_f32_16x16x32_fp8_fp8 v[80:83], a[56:57], a[24:25], v[80:83]// 000000009DEC: D3F30050 1D423138
	buffer_load_dwordx4 a[204:207], v48, s[24:27], 0 offen offset:1024// 000000009DF4: E05C1400 8086CC30
	v_mfma_f32_16x16x32_fp8_fp8 v[80:83], a[58:59], a[26:27], v[80:83]// 000000009DFC: D3F30050 1D42353A
	v_mfma_f32_16x16x32_fp8_fp8 v[80:83], a[60:61], a[28:29], v[80:83]// 000000009E04: D3F30050 1D42393C
	v_mfma_f32_16x16x32_fp8_fp8 v[80:83], a[62:63], a[30:31], v[80:83]// 000000009E0C: D3F30050 1D423D3E
	v_mfma_f32_16x16x32_fp8_fp8 v[88:91], a[64:65], a[24:25], v[88:91]// 000000009E14: D3F30058 1D623140
	buffer_load_dwordx4 a[208:211], v49, s[24:27], 0 offen     // 000000009E1C: E05C1000 8086D031
	v_mfma_f32_16x16x32_fp8_fp8 v[88:91], a[66:67], a[26:27], v[88:91]// 000000009E24: D3F30058 1D623542
	v_mfma_f32_16x16x32_fp8_fp8 v[88:91], a[68:69], a[28:29], v[88:91]// 000000009E2C: D3F30058 1D623944
	v_mfma_f32_16x16x32_fp8_fp8 v[88:91], a[70:71], a[30:31], v[88:91]// 000000009E34: D3F30058 1D623D46
	v_mfma_f32_16x16x32_fp8_fp8 v[96:99], a[72:73], a[24:25], v[96:99]// 000000009E3C: D3F30060 1D823148
	buffer_load_dwordx4 a[212:215], v49, s[24:27], 0 offen offset:1024// 000000009E44: E05C1400 8086D431
	v_mfma_f32_16x16x32_fp8_fp8 v[96:99], a[74:75], a[26:27], v[96:99]// 000000009E4C: D3F30060 1D82354A
	v_mfma_f32_16x16x32_fp8_fp8 v[96:99], a[76:77], a[28:29], v[96:99]// 000000009E54: D3F30060 1D82394C
	v_mfma_f32_16x16x32_fp8_fp8 v[96:99], a[78:79], a[30:31], v[96:99]// 000000009E5C: D3F30060 1D823D4E
	v_mfma_f32_16x16x32_fp8_fp8 v[104:107], a[80:81], a[24:25], v[104:107]// 000000009E64: D3F30068 1DA23150
	buffer_load_dwordx4 a[216:219], v50, s[24:27], 0 offen     // 000000009E6C: E05C1000 8086D832
	v_mfma_f32_16x16x32_fp8_fp8 v[104:107], a[82:83], a[26:27], v[104:107]// 000000009E74: D3F30068 1DA23552
	v_mfma_f32_16x16x32_fp8_fp8 v[104:107], a[84:85], a[28:29], v[104:107]// 000000009E7C: D3F30068 1DA23954
	v_mfma_f32_16x16x32_fp8_fp8 v[104:107], a[86:87], a[30:31], v[104:107]// 000000009E84: D3F30068 1DA23D56
	v_mfma_f32_16x16x32_fp8_fp8 v[112:115], a[88:89], a[24:25], v[112:115]// 000000009E8C: D3F30070 1DC23158
	buffer_load_dwordx4 a[220:223], v50, s[24:27], 0 offen offset:1024// 000000009E94: E05C1400 8086DC32
	buffer_load_dword v39, s[20:23], 0 offen lds               // 000000009E9C: E0511000 80050027
	s_add_u32 m0, 0x100, s50                                   // 000000009EA4: 807C32FF 00000100
	v_mfma_f32_16x16x32_fp8_fp8 v[112:115], a[90:91], a[26:27], v[112:115]// 000000009EAC: D3F30070 1DC2355A
	v_mfma_f32_16x16x32_fp8_fp8 v[112:115], a[92:93], a[28:29], v[112:115]// 000000009EB4: D3F30070 1DC2395C
	buffer_load_dword v40, s[20:23], 0 offen lds               // 000000009EBC: E0511000 80050028
	s_add_u32 m0, 0x200, s50                                   // 000000009EC4: 807C32FF 00000200
	v_mfma_f32_16x16x32_fp8_fp8 v[112:115], a[94:95], a[30:31], v[112:115]// 000000009ECC: D3F30070 1DC23D5E
	buffer_load_dword v41, s[20:23], 0 offen lds               // 000000009ED4: E0511000 80050029
	s_add_u32 m0, 0x300, s50                                   // 000000009EDC: 807C32FF 00000300
	buffer_load_dword v42, s[20:23], 0 offen lds               // 000000009EE4: E0511000 8005002A
	s_add_u32 m0, 0, s48                                       // 000000009EEC: 807C3080
	s_waitcnt vmcnt(20)                                        // 000000009EF0: BF8C4F74
	s_barrier                                                  // 000000009EF4: BF8A0000
	v_mfma_f32_16x16x32_fp8_fp8 v[116:119], a[96:97], a[16:17], v[116:119]// 000000009EF8: D3F30074 1DD22160
	buffer_load_dwordx4 a[32:35], v43, s[84:87], 0 offen       // 000000009F00: E05C1000 8095202B
	v_mfma_f32_16x16x32_fp8_fp8 v[116:119], a[98:99], a[18:19], v[116:119]// 000000009F08: D3F30074 1DD22562
	v_mfma_f32_16x16x32_fp8_fp8 v[116:119], a[100:101], a[20:21], v[116:119]// 000000009F10: D3F30074 1DD22964
	ds_read_b128 a[0:3], v2 offset:4224                        // 000000009F18: DBFE1080 00000002
	ds_read_b128 a[4:7], v2 offset:4288                        // 000000009F20: DBFE10C0 04000002
	v_mfma_f32_16x16x32_fp8_fp8 v[116:119], a[102:103], a[22:23], v[116:119]// 000000009F28: D3F30074 1DD22D66
	v_mfma_f32_16x16x32_fp8_fp8 v[124:127], a[104:105], a[16:17], v[124:127]// 000000009F30: D3F3007C 1DF22168
	buffer_load_dwordx4 a[36:39], v43, s[84:87], 0 offen offset:1024// 000000009F38: E05C1400 8095242B
	v_mfma_f32_16x16x32_fp8_fp8 v[124:127], a[106:107], a[18:19], v[124:127]// 000000009F40: D3F3007C 1DF2256A
	v_mfma_f32_16x16x32_fp8_fp8 v[124:127], a[108:109], a[20:21], v[124:127]// 000000009F48: D3F3007C 1DF2296C
	ds_read_b128 a[8:11], v2 offset:4736                       // 000000009F50: DBFE1280 08000002
	ds_read_b128 a[12:15], v2 offset:4800                      // 000000009F58: DBFE12C0 0C000002
	v_mfma_f32_16x16x32_fp8_fp8 v[124:127], a[110:111], a[22:23], v[124:127]// 000000009F60: D3F3007C 1DF22D6E
	v_mfma_f32_16x16x32_fp8_fp8 v[132:135], a[112:113], a[16:17], v[132:135]// 000000009F68: D3F30084 1E122170
	buffer_load_dwordx4 a[40:43], v44, s[84:87], 0 offen       // 000000009F70: E05C1000 8095282C
	v_mfma_f32_16x16x32_fp8_fp8 v[132:135], a[114:115], a[18:19], v[132:135]// 000000009F78: D3F30084 1E122572
	v_mfma_f32_16x16x32_fp8_fp8 v[132:135], a[116:117], a[20:21], v[132:135]// 000000009F80: D3F30084 1E122974
	v_mfma_f32_16x16x32_fp8_fp8 v[132:135], a[118:119], a[22:23], v[132:135]// 000000009F88: D3F30084 1E122D76
	v_mfma_f32_16x16x32_fp8_fp8 v[140:143], a[120:121], a[16:17], v[140:143]// 000000009F90: D3F3008C 1E322178
	buffer_load_dwordx4 a[44:47], v44, s[84:87], 0 offen offset:1024// 000000009F98: E05C1400 80952C2C
	v_mfma_f32_16x16x32_fp8_fp8 v[140:143], a[122:123], a[18:19], v[140:143]// 000000009FA0: D3F3008C 1E32257A
	v_mfma_f32_16x16x32_fp8_fp8 v[140:143], a[124:125], a[20:21], v[140:143]// 000000009FA8: D3F3008C 1E32297C
	v_mfma_f32_16x16x32_fp8_fp8 v[140:143], a[126:127], a[22:23], v[140:143]// 000000009FB0: D3F3008C 1E322D7E
	v_mfma_f32_16x16x32_fp8_fp8 v[148:151], a[128:129], a[16:17], v[148:151]// 000000009FB8: D3F30094 1E522180
	buffer_load_dwordx4 a[48:51], v45, s[84:87], 0 offen       // 000000009FC0: E05C1000 8095302D
	v_mfma_f32_16x16x32_fp8_fp8 v[148:151], a[130:131], a[18:19], v[148:151]// 000000009FC8: D3F30094 1E522582
	v_mfma_f32_16x16x32_fp8_fp8 v[148:151], a[132:133], a[20:21], v[148:151]// 000000009FD0: D3F30094 1E522984
	v_mfma_f32_16x16x32_fp8_fp8 v[148:151], a[134:135], a[22:23], v[148:151]// 000000009FD8: D3F30094 1E522D86
	v_mfma_f32_16x16x32_fp8_fp8 v[156:159], a[136:137], a[16:17], v[156:159]// 000000009FE0: D3F3009C 1E722188
	buffer_load_dwordx4 a[52:55], v45, s[84:87], 0 offen offset:1024// 000000009FE8: E05C1400 8095342D
	v_mfma_f32_16x16x32_fp8_fp8 v[156:159], a[138:139], a[18:19], v[156:159]// 000000009FF0: D3F3009C 1E72258A
	v_mfma_f32_16x16x32_fp8_fp8 v[156:159], a[140:141], a[20:21], v[156:159]// 000000009FF8: D3F3009C 1E72298C
	v_mfma_f32_16x16x32_fp8_fp8 v[156:159], a[142:143], a[22:23], v[156:159]// 00000000A000: D3F3009C 1E722D8E
	v_mfma_f32_16x16x32_fp8_fp8 v[164:167], a[144:145], a[16:17], v[164:167]// 00000000A008: D3F300A4 1E922190
	buffer_load_dwordx4 a[56:59], v46, s[84:87], 0 offen       // 00000000A010: E05C1000 8095382E
	v_mfma_f32_16x16x32_fp8_fp8 v[164:167], a[146:147], a[18:19], v[164:167]// 00000000A018: D3F300A4 1E922592
	v_mfma_f32_16x16x32_fp8_fp8 v[164:167], a[148:149], a[20:21], v[164:167]// 00000000A020: D3F300A4 1E922994
	v_mfma_f32_16x16x32_fp8_fp8 v[164:167], a[150:151], a[22:23], v[164:167]// 00000000A028: D3F300A4 1E922D96
	v_mfma_f32_16x16x32_fp8_fp8 v[172:175], a[152:153], a[16:17], v[172:175]// 00000000A030: D3F300AC 1EB22198
	buffer_load_dwordx4 a[60:63], v46, s[84:87], 0 offen offset:1024// 00000000A038: E05C1400 80953C2E
	v_mfma_f32_16x16x32_fp8_fp8 v[172:175], a[154:155], a[18:19], v[172:175]// 00000000A040: D3F300AC 1EB2259A
	v_mfma_f32_16x16x32_fp8_fp8 v[172:175], a[156:157], a[20:21], v[172:175]// 00000000A048: D3F300AC 1EB2299C
	v_mfma_f32_16x16x32_fp8_fp8 v[172:175], a[158:159], a[22:23], v[172:175]// 00000000A050: D3F300AC 1EB22D9E
	v_mfma_f32_16x16x32_fp8_fp8 v[120:123], a[96:97], a[24:25], v[120:123]// 00000000A058: D3F30078 1DE23160
	buffer_load_dwordx4 a[64:67], v47, s[84:87], 0 offen       // 00000000A060: E05C1000 8095402F
	v_mfma_f32_16x16x32_fp8_fp8 v[120:123], a[98:99], a[26:27], v[120:123]// 00000000A068: D3F30078 1DE23562
	v_mfma_f32_16x16x32_fp8_fp8 v[120:123], a[100:101], a[28:29], v[120:123]// 00000000A070: D3F30078 1DE23964
	v_mfma_f32_16x16x32_fp8_fp8 v[120:123], a[102:103], a[30:31], v[120:123]// 00000000A078: D3F30078 1DE23D66
	v_mfma_f32_16x16x32_fp8_fp8 v[128:131], a[104:105], a[24:25], v[128:131]// 00000000A080: D3F30080 1E023168
	buffer_load_dwordx4 a[68:71], v47, s[84:87], 0 offen offset:1024// 00000000A088: E05C1400 8095442F
	v_mfma_f32_16x16x32_fp8_fp8 v[128:131], a[106:107], a[26:27], v[128:131]// 00000000A090: D3F30080 1E02356A
	v_mfma_f32_16x16x32_fp8_fp8 v[128:131], a[108:109], a[28:29], v[128:131]// 00000000A098: D3F30080 1E02396C
	v_mfma_f32_16x16x32_fp8_fp8 v[128:131], a[110:111], a[30:31], v[128:131]// 00000000A0A0: D3F30080 1E023D6E
	v_mfma_f32_16x16x32_fp8_fp8 v[136:139], a[112:113], a[24:25], v[136:139]// 00000000A0A8: D3F30088 1E223170
	buffer_load_dwordx4 a[72:75], v48, s[84:87], 0 offen       // 00000000A0B0: E05C1000 80954830
	v_mfma_f32_16x16x32_fp8_fp8 v[136:139], a[114:115], a[26:27], v[136:139]// 00000000A0B8: D3F30088 1E223572
	v_mfma_f32_16x16x32_fp8_fp8 v[136:139], a[116:117], a[28:29], v[136:139]// 00000000A0C0: D3F30088 1E223974
	v_mfma_f32_16x16x32_fp8_fp8 v[136:139], a[118:119], a[30:31], v[136:139]// 00000000A0C8: D3F30088 1E223D76
	v_mfma_f32_16x16x32_fp8_fp8 v[144:147], a[120:121], a[24:25], v[144:147]// 00000000A0D0: D3F30090 1E423178
	buffer_load_dwordx4 a[76:79], v48, s[84:87], 0 offen offset:1024// 00000000A0D8: E05C1400 80954C30
	v_mfma_f32_16x16x32_fp8_fp8 v[144:147], a[122:123], a[26:27], v[144:147]// 00000000A0E0: D3F30090 1E42357A
	v_mfma_f32_16x16x32_fp8_fp8 v[144:147], a[124:125], a[28:29], v[144:147]// 00000000A0E8: D3F30090 1E42397C
	v_mfma_f32_16x16x32_fp8_fp8 v[144:147], a[126:127], a[30:31], v[144:147]// 00000000A0F0: D3F30090 1E423D7E
	v_mfma_f32_16x16x32_fp8_fp8 v[152:155], a[128:129], a[24:25], v[152:155]// 00000000A0F8: D3F30098 1E623180
	buffer_load_dwordx4 a[80:83], v49, s[84:87], 0 offen       // 00000000A100: E05C1000 80955031
	v_mfma_f32_16x16x32_fp8_fp8 v[152:155], a[130:131], a[26:27], v[152:155]// 00000000A108: D3F30098 1E623582
	v_mfma_f32_16x16x32_fp8_fp8 v[152:155], a[132:133], a[28:29], v[152:155]// 00000000A110: D3F30098 1E623984
	v_mfma_f32_16x16x32_fp8_fp8 v[152:155], a[134:135], a[30:31], v[152:155]// 00000000A118: D3F30098 1E623D86
	v_mfma_f32_16x16x32_fp8_fp8 v[160:163], a[136:137], a[24:25], v[160:163]// 00000000A120: D3F300A0 1E823188
	buffer_load_dwordx4 a[84:87], v49, s[84:87], 0 offen offset:1024// 00000000A128: E05C1400 80955431
	v_mfma_f32_16x16x32_fp8_fp8 v[160:163], a[138:139], a[26:27], v[160:163]// 00000000A130: D3F300A0 1E82358A
	v_mfma_f32_16x16x32_fp8_fp8 v[160:163], a[140:141], a[28:29], v[160:163]// 00000000A138: D3F300A0 1E82398C
	v_mfma_f32_16x16x32_fp8_fp8 v[160:163], a[142:143], a[30:31], v[160:163]// 00000000A140: D3F300A0 1E823D8E
	v_mfma_f32_16x16x32_fp8_fp8 v[168:171], a[144:145], a[24:25], v[168:171]// 00000000A148: D3F300A8 1EA23190
	buffer_load_dwordx4 a[88:91], v50, s[84:87], 0 offen       // 00000000A150: E05C1000 80955832
	s_add_u32 s60, 0x180, s80                                  // 00000000A158: 803C50FF 00000180
	s_cmp_lt_u32 s60, s81                                      // 00000000A160: BF0A513C
	s_cselect_b32 s57, s57, 0                                  // 00000000A164: 85398039
	v_mfma_f32_16x16x32_fp8_fp8 v[168:171], a[146:147], a[26:27], v[168:171]// 00000000A168: D3F300A8 1EA23592
	s_add_u32 s60, 0x100, s80                                  // 00000000A170: 803C50FF 00000100
	s_cmp_lt_u32 s60, s81                                      // 00000000A178: BF0A513C
	s_cselect_b32 s58, s58, 0                                  // 00000000A17C: 853A803A
	v_mfma_f32_16x16x32_fp8_fp8 v[168:171], a[148:149], a[28:29], v[168:171]// 00000000A180: D3F300A8 1EA23994
	s_add_u32 s60, 0x100, s80                                  // 00000000A188: 803C50FF 00000100
	s_cmp_lt_u32 s60, s81                                      // 00000000A190: BF0A513C
	s_cselect_b32 s83, s83, 0                                  // 00000000A194: 85538053
	v_mfma_f32_16x16x32_fp8_fp8 v[168:171], a[150:151], a[30:31], v[168:171]// 00000000A198: D3F300A8 1EA23D96
	s_add_u32 s24, s58, s24                                    // 00000000A1A0: 8018183A
	s_addc_u32 s25, 0, s25                                     // 00000000A1A4: 82191980
	v_mfma_f32_16x16x32_fp8_fp8 v[176:179], a[152:153], a[24:25], v[176:179]// 00000000A1A8: D3F300B0 1EC23198
	buffer_load_dwordx4 a[92:95], v50, s[84:87], 0 offen offset:1024// 00000000A1B0: E05C1400 80955C32
	s_add_u32 s20, s57, s20                                    // 00000000A1B8: 80141439
	s_addc_u32 s21, 0, s21                                     // 00000000A1BC: 82151580
	v_mfma_f32_16x16x32_fp8_fp8 v[176:179], a[154:155], a[26:27], v[176:179]// 00000000A1C0: D3F300B0 1EC2359A
	s_add_u32 s84, s83, s84                                    // 00000000A1C8: 80545453
	s_addc_u32 s85, 0, s85                                     // 00000000A1CC: 82555580
	v_mfma_f32_16x16x32_fp8_fp8 v[176:179], a[156:157], a[28:29], v[176:179]// 00000000A1D0: D3F300B0 1EC2399C
	v_mfma_f32_16x16x32_fp8_fp8 v[176:179], a[158:159], a[30:31], v[176:179]// 00000000A1D8: D3F300B0 1EC23D9E
	s_addk_i32 s80, 0x80                                       // 00000000A1E0: B7500080
	s_cmp_lt_i32 s80, s81                                      // 00000000A1E4: BF045150
	s_cbranch_scc0 label_20DD                                  // 00000000A1E8: BF8402DF
	s_waitcnt vmcnt(20) lgkmcnt(0)                             // 00000000A1EC: BF8C4074
	v_mfma_f32_16x16x32_fp8_fp8 v[52:55], a[160:161], a[0:1], v[52:55]// 00000000A1F0: D3F30034 1CD201A0
	buffer_load_dwordx4 a[96:99], v43, s[24:27], 0 offen       // 00000000A1F8: E05C1000 8086602B
	v_mfma_f32_16x16x32_fp8_fp8 v[52:55], a[162:163], a[2:3], v[52:55]// 00000000A200: D3F30034 1CD205A2
	v_mfma_f32_16x16x32_fp8_fp8 v[52:55], a[164:165], a[4:5], v[52:55]// 00000000A208: D3F30034 1CD209A4
	v_mfma_f32_16x16x32_fp8_fp8 v[52:55], a[166:167], a[6:7], v[52:55]// 00000000A210: D3F30034 1CD20DA6
	v_mfma_f32_16x16x32_fp8_fp8 v[60:63], a[168:169], a[0:1], v[60:63]// 00000000A218: D3F3003C 1CF201A8
	buffer_load_dwordx4 a[100:103], v43, s[24:27], 0 offen offset:1024// 00000000A220: E05C1400 8086642B
	v_mfma_f32_16x16x32_fp8_fp8 v[60:63], a[170:171], a[2:3], v[60:63]// 00000000A228: D3F3003C 1CF205AA
	v_mfma_f32_16x16x32_fp8_fp8 v[60:63], a[172:173], a[4:5], v[60:63]// 00000000A230: D3F3003C 1CF209AC
	v_mfma_f32_16x16x32_fp8_fp8 v[60:63], a[174:175], a[6:7], v[60:63]// 00000000A238: D3F3003C 1CF20DAE
	v_mfma_f32_16x16x32_fp8_fp8 v[68:71], a[176:177], a[0:1], v[68:71]// 00000000A240: D3F30044 1D1201B0
	buffer_load_dwordx4 a[104:107], v44, s[24:27], 0 offen     // 00000000A248: E05C1000 8086682C
	v_mfma_f32_16x16x32_fp8_fp8 v[68:71], a[178:179], a[2:3], v[68:71]// 00000000A250: D3F30044 1D1205B2
	v_mfma_f32_16x16x32_fp8_fp8 v[68:71], a[180:181], a[4:5], v[68:71]// 00000000A258: D3F30044 1D1209B4
	v_mfma_f32_16x16x32_fp8_fp8 v[68:71], a[182:183], a[6:7], v[68:71]// 00000000A260: D3F30044 1D120DB6
	v_mfma_f32_16x16x32_fp8_fp8 v[76:79], a[184:185], a[0:1], v[76:79]// 00000000A268: D3F3004C 1D3201B8
	buffer_load_dwordx4 a[108:111], v44, s[24:27], 0 offen offset:1024// 00000000A270: E05C1400 80866C2C
	v_mfma_f32_16x16x32_fp8_fp8 v[76:79], a[186:187], a[2:3], v[76:79]// 00000000A278: D3F3004C 1D3205BA
	v_mfma_f32_16x16x32_fp8_fp8 v[76:79], a[188:189], a[4:5], v[76:79]// 00000000A280: D3F3004C 1D3209BC
	v_mfma_f32_16x16x32_fp8_fp8 v[76:79], a[190:191], a[6:7], v[76:79]// 00000000A288: D3F3004C 1D320DBE
	v_mfma_f32_16x16x32_fp8_fp8 v[84:87], a[192:193], a[0:1], v[84:87]// 00000000A290: D3F30054 1D5201C0
	buffer_load_dwordx4 a[112:115], v45, s[24:27], 0 offen     // 00000000A298: E05C1000 8086702D
	v_mfma_f32_16x16x32_fp8_fp8 v[84:87], a[194:195], a[2:3], v[84:87]// 00000000A2A0: D3F30054 1D5205C2
	v_mfma_f32_16x16x32_fp8_fp8 v[84:87], a[196:197], a[4:5], v[84:87]// 00000000A2A8: D3F30054 1D5209C4
	v_mfma_f32_16x16x32_fp8_fp8 v[84:87], a[198:199], a[6:7], v[84:87]// 00000000A2B0: D3F30054 1D520DC6
	v_mfma_f32_16x16x32_fp8_fp8 v[92:95], a[200:201], a[0:1], v[92:95]// 00000000A2B8: D3F3005C 1D7201C8
	buffer_load_dwordx4 a[116:119], v45, s[24:27], 0 offen offset:1024// 00000000A2C0: E05C1400 8086742D
	v_mfma_f32_16x16x32_fp8_fp8 v[92:95], a[202:203], a[2:3], v[92:95]// 00000000A2C8: D3F3005C 1D7205CA
	v_mfma_f32_16x16x32_fp8_fp8 v[92:95], a[204:205], a[4:5], v[92:95]// 00000000A2D0: D3F3005C 1D7209CC
	v_mfma_f32_16x16x32_fp8_fp8 v[92:95], a[206:207], a[6:7], v[92:95]// 00000000A2D8: D3F3005C 1D720DCE
	v_mfma_f32_16x16x32_fp8_fp8 v[100:103], a[208:209], a[0:1], v[100:103]// 00000000A2E0: D3F30064 1D9201D0
	buffer_load_dwordx4 a[120:123], v46, s[24:27], 0 offen     // 00000000A2E8: E05C1000 8086782E
	v_mfma_f32_16x16x32_fp8_fp8 v[100:103], a[210:211], a[2:3], v[100:103]// 00000000A2F0: D3F30064 1D9205D2
	v_mfma_f32_16x16x32_fp8_fp8 v[100:103], a[212:213], a[4:5], v[100:103]// 00000000A2F8: D3F30064 1D9209D4
	v_mfma_f32_16x16x32_fp8_fp8 v[100:103], a[214:215], a[6:7], v[100:103]// 00000000A300: D3F30064 1D920DD6
	v_mfma_f32_16x16x32_fp8_fp8 v[108:111], a[216:217], a[0:1], v[108:111]// 00000000A308: D3F3006C 1DB201D8
	buffer_load_dwordx4 a[124:127], v46, s[24:27], 0 offen offset:1024// 00000000A310: E05C1400 80867C2E
	v_mfma_f32_16x16x32_fp8_fp8 v[108:111], a[218:219], a[2:3], v[108:111]// 00000000A318: D3F3006C 1DB205DA
	v_mfma_f32_16x16x32_fp8_fp8 v[108:111], a[220:221], a[4:5], v[108:111]// 00000000A320: D3F3006C 1DB209DC
	v_mfma_f32_16x16x32_fp8_fp8 v[108:111], a[222:223], a[6:7], v[108:111]// 00000000A328: D3F3006C 1DB20DDE
	v_mfma_f32_16x16x32_fp8_fp8 v[56:59], a[160:161], a[8:9], v[56:59]// 00000000A330: D3F30038 1CE211A0
	buffer_load_dwordx4 a[128:131], v47, s[24:27], 0 offen     // 00000000A338: E05C1000 8086802F
	v_mfma_f32_16x16x32_fp8_fp8 v[56:59], a[162:163], a[10:11], v[56:59]// 00000000A340: D3F30038 1CE215A2
	v_mfma_f32_16x16x32_fp8_fp8 v[56:59], a[164:165], a[12:13], v[56:59]// 00000000A348: D3F30038 1CE219A4
	v_mfma_f32_16x16x32_fp8_fp8 v[56:59], a[166:167], a[14:15], v[56:59]// 00000000A350: D3F30038 1CE21DA6
	v_mfma_f32_16x16x32_fp8_fp8 v[64:67], a[168:169], a[8:9], v[64:67]// 00000000A358: D3F30040 1D0211A8
	buffer_load_dwordx4 a[132:135], v47, s[24:27], 0 offen offset:1024// 00000000A360: E05C1400 8086842F
	v_mfma_f32_16x16x32_fp8_fp8 v[64:67], a[170:171], a[10:11], v[64:67]// 00000000A368: D3F30040 1D0215AA
	v_mfma_f32_16x16x32_fp8_fp8 v[64:67], a[172:173], a[12:13], v[64:67]// 00000000A370: D3F30040 1D0219AC
	v_mfma_f32_16x16x32_fp8_fp8 v[64:67], a[174:175], a[14:15], v[64:67]// 00000000A378: D3F30040 1D021DAE
	v_mfma_f32_16x16x32_fp8_fp8 v[72:75], a[176:177], a[8:9], v[72:75]// 00000000A380: D3F30048 1D2211B0
	buffer_load_dwordx4 a[136:139], v48, s[24:27], 0 offen     // 00000000A388: E05C1000 80868830
	v_mfma_f32_16x16x32_fp8_fp8 v[72:75], a[178:179], a[10:11], v[72:75]// 00000000A390: D3F30048 1D2215B2
	v_mfma_f32_16x16x32_fp8_fp8 v[72:75], a[180:181], a[12:13], v[72:75]// 00000000A398: D3F30048 1D2219B4
	v_mfma_f32_16x16x32_fp8_fp8 v[72:75], a[182:183], a[14:15], v[72:75]// 00000000A3A0: D3F30048 1D221DB6
	v_mfma_f32_16x16x32_fp8_fp8 v[80:83], a[184:185], a[8:9], v[80:83]// 00000000A3A8: D3F30050 1D4211B8
	buffer_load_dwordx4 a[140:143], v48, s[24:27], 0 offen offset:1024// 00000000A3B0: E05C1400 80868C30
	v_mfma_f32_16x16x32_fp8_fp8 v[80:83], a[186:187], a[10:11], v[80:83]// 00000000A3B8: D3F30050 1D4215BA
	v_mfma_f32_16x16x32_fp8_fp8 v[80:83], a[188:189], a[12:13], v[80:83]// 00000000A3C0: D3F30050 1D4219BC
	v_mfma_f32_16x16x32_fp8_fp8 v[80:83], a[190:191], a[14:15], v[80:83]// 00000000A3C8: D3F30050 1D421DBE
	v_mfma_f32_16x16x32_fp8_fp8 v[88:91], a[192:193], a[8:9], v[88:91]// 00000000A3D0: D3F30058 1D6211C0
	buffer_load_dwordx4 a[144:147], v49, s[24:27], 0 offen     // 00000000A3D8: E05C1000 80869031
	v_mfma_f32_16x16x32_fp8_fp8 v[88:91], a[194:195], a[10:11], v[88:91]// 00000000A3E0: D3F30058 1D6215C2
	v_mfma_f32_16x16x32_fp8_fp8 v[88:91], a[196:197], a[12:13], v[88:91]// 00000000A3E8: D3F30058 1D6219C4
	v_mfma_f32_16x16x32_fp8_fp8 v[88:91], a[198:199], a[14:15], v[88:91]// 00000000A3F0: D3F30058 1D621DC6
	v_mfma_f32_16x16x32_fp8_fp8 v[96:99], a[200:201], a[8:9], v[96:99]// 00000000A3F8: D3F30060 1D8211C8
	buffer_load_dwordx4 a[148:151], v49, s[24:27], 0 offen offset:1024// 00000000A400: E05C1400 80869431
	v_mfma_f32_16x16x32_fp8_fp8 v[96:99], a[202:203], a[10:11], v[96:99]// 00000000A408: D3F30060 1D8215CA
	v_mfma_f32_16x16x32_fp8_fp8 v[96:99], a[204:205], a[12:13], v[96:99]// 00000000A410: D3F30060 1D8219CC
	v_mfma_f32_16x16x32_fp8_fp8 v[96:99], a[206:207], a[14:15], v[96:99]// 00000000A418: D3F30060 1D821DCE
	v_mfma_f32_16x16x32_fp8_fp8 v[104:107], a[208:209], a[8:9], v[104:107]// 00000000A420: D3F30068 1DA211D0
	buffer_load_dwordx4 a[152:155], v50, s[24:27], 0 offen     // 00000000A428: E05C1000 80869832
	v_mfma_f32_16x16x32_fp8_fp8 v[104:107], a[210:211], a[10:11], v[104:107]// 00000000A430: D3F30068 1DA215D2
	v_mfma_f32_16x16x32_fp8_fp8 v[104:107], a[212:213], a[12:13], v[104:107]// 00000000A438: D3F30068 1DA219D4
	v_mfma_f32_16x16x32_fp8_fp8 v[104:107], a[214:215], a[14:15], v[104:107]// 00000000A440: D3F30068 1DA21DD6
	v_mfma_f32_16x16x32_fp8_fp8 v[112:115], a[216:217], a[8:9], v[112:115]// 00000000A448: D3F30070 1DC211D8
	buffer_load_dwordx4 a[156:159], v50, s[24:27], 0 offen offset:1024// 00000000A450: E05C1400 80869C32
	buffer_load_dword v39, s[20:23], 0 offen lds               // 00000000A458: E0511000 80050027
	s_add_u32 m0, 0x100, s48                                   // 00000000A460: 807C30FF 00000100
	v_mfma_f32_16x16x32_fp8_fp8 v[112:115], a[218:219], a[10:11], v[112:115]// 00000000A468: D3F30070 1DC215DA
	v_mfma_f32_16x16x32_fp8_fp8 v[112:115], a[220:221], a[12:13], v[112:115]// 00000000A470: D3F30070 1DC219DC
	buffer_load_dword v40, s[20:23], 0 offen lds               // 00000000A478: E0511000 80050028
	s_add_u32 m0, 0x200, s48                                   // 00000000A480: 807C30FF 00000200
	v_mfma_f32_16x16x32_fp8_fp8 v[112:115], a[222:223], a[14:15], v[112:115]// 00000000A488: D3F30070 1DC21DDE
	buffer_load_dword v41, s[20:23], 0 offen lds               // 00000000A490: E0511000 80050029
	s_add_u32 m0, 0x300, s48                                   // 00000000A498: 807C30FF 00000300
	buffer_load_dword v42, s[20:23], 0 offen lds               // 00000000A4A0: E0511000 8005002A
	s_add_u32 m0, 0, s49                                       // 00000000A4A8: 807C3180
	s_waitcnt vmcnt(20)                                        // 00000000A4AC: BF8C4F74
	s_barrier                                                  // 00000000A4B0: BF8A0000
	v_mfma_f32_16x16x32_fp8_fp8 v[116:119], a[32:33], a[0:1], v[116:119]// 00000000A4B4: D3F30074 1DD20120
	buffer_load_dwordx4 a[160:163], v43, s[84:87], 0 offen     // 00000000A4BC: E05C1000 8095A02B
	v_mfma_f32_16x16x32_fp8_fp8 v[116:119], a[34:35], a[2:3], v[116:119]// 00000000A4C4: D3F30074 1DD20522
	v_mfma_f32_16x16x32_fp8_fp8 v[116:119], a[36:37], a[4:5], v[116:119]// 00000000A4CC: D3F30074 1DD20924
	ds_read_b128 a[16:19], v2 offset:8448                      // 00000000A4D4: DBFE2100 10000002
	ds_read_b128 a[20:23], v2 offset:8512                      // 00000000A4DC: DBFE2140 14000002
	v_mfma_f32_16x16x32_fp8_fp8 v[116:119], a[38:39], a[6:7], v[116:119]// 00000000A4E4: D3F30074 1DD20D26
	v_mfma_f32_16x16x32_fp8_fp8 v[124:127], a[40:41], a[0:1], v[124:127]// 00000000A4EC: D3F3007C 1DF20128
	buffer_load_dwordx4 a[164:167], v43, s[84:87], 0 offen offset:1024// 00000000A4F4: E05C1400 8095A42B
	v_mfma_f32_16x16x32_fp8_fp8 v[124:127], a[42:43], a[2:3], v[124:127]// 00000000A4FC: D3F3007C 1DF2052A
	v_mfma_f32_16x16x32_fp8_fp8 v[124:127], a[44:45], a[4:5], v[124:127]// 00000000A504: D3F3007C 1DF2092C
	ds_read_b128 a[24:27], v2 offset:8960                      // 00000000A50C: DBFE2300 18000002
	ds_read_b128 a[28:31], v2 offset:9024                      // 00000000A514: DBFE2340 1C000002
	v_mfma_f32_16x16x32_fp8_fp8 v[124:127], a[46:47], a[6:7], v[124:127]// 00000000A51C: D3F3007C 1DF20D2E
	v_mfma_f32_16x16x32_fp8_fp8 v[132:135], a[48:49], a[0:1], v[132:135]// 00000000A524: D3F30084 1E120130
	buffer_load_dwordx4 a[168:171], v44, s[84:87], 0 offen     // 00000000A52C: E05C1000 8095A82C
	v_mfma_f32_16x16x32_fp8_fp8 v[132:135], a[50:51], a[2:3], v[132:135]// 00000000A534: D3F30084 1E120532
	v_mfma_f32_16x16x32_fp8_fp8 v[132:135], a[52:53], a[4:5], v[132:135]// 00000000A53C: D3F30084 1E120934
	v_mfma_f32_16x16x32_fp8_fp8 v[132:135], a[54:55], a[6:7], v[132:135]// 00000000A544: D3F30084 1E120D36
	v_mfma_f32_16x16x32_fp8_fp8 v[140:143], a[56:57], a[0:1], v[140:143]// 00000000A54C: D3F3008C 1E320138
	buffer_load_dwordx4 a[172:175], v44, s[84:87], 0 offen offset:1024// 00000000A554: E05C1400 8095AC2C
	v_mfma_f32_16x16x32_fp8_fp8 v[140:143], a[58:59], a[2:3], v[140:143]// 00000000A55C: D3F3008C 1E32053A
	v_mfma_f32_16x16x32_fp8_fp8 v[140:143], a[60:61], a[4:5], v[140:143]// 00000000A564: D3F3008C 1E32093C
	v_mfma_f32_16x16x32_fp8_fp8 v[140:143], a[62:63], a[6:7], v[140:143]// 00000000A56C: D3F3008C 1E320D3E
	v_mfma_f32_16x16x32_fp8_fp8 v[148:151], a[64:65], a[0:1], v[148:151]// 00000000A574: D3F30094 1E520140
	buffer_load_dwordx4 a[176:179], v45, s[84:87], 0 offen     // 00000000A57C: E05C1000 8095B02D
	v_mfma_f32_16x16x32_fp8_fp8 v[148:151], a[66:67], a[2:3], v[148:151]// 00000000A584: D3F30094 1E520542
	v_mfma_f32_16x16x32_fp8_fp8 v[148:151], a[68:69], a[4:5], v[148:151]// 00000000A58C: D3F30094 1E520944
	v_mfma_f32_16x16x32_fp8_fp8 v[148:151], a[70:71], a[6:7], v[148:151]// 00000000A594: D3F30094 1E520D46
	v_mfma_f32_16x16x32_fp8_fp8 v[156:159], a[72:73], a[0:1], v[156:159]// 00000000A59C: D3F3009C 1E720148
	buffer_load_dwordx4 a[180:183], v45, s[84:87], 0 offen offset:1024// 00000000A5A4: E05C1400 8095B42D
	v_mfma_f32_16x16x32_fp8_fp8 v[156:159], a[74:75], a[2:3], v[156:159]// 00000000A5AC: D3F3009C 1E72054A
	v_mfma_f32_16x16x32_fp8_fp8 v[156:159], a[76:77], a[4:5], v[156:159]// 00000000A5B4: D3F3009C 1E72094C
	v_mfma_f32_16x16x32_fp8_fp8 v[156:159], a[78:79], a[6:7], v[156:159]// 00000000A5BC: D3F3009C 1E720D4E
	v_mfma_f32_16x16x32_fp8_fp8 v[164:167], a[80:81], a[0:1], v[164:167]// 00000000A5C4: D3F300A4 1E920150
	buffer_load_dwordx4 a[184:187], v46, s[84:87], 0 offen     // 00000000A5CC: E05C1000 8095B82E
	v_mfma_f32_16x16x32_fp8_fp8 v[164:167], a[82:83], a[2:3], v[164:167]// 00000000A5D4: D3F300A4 1E920552
	v_mfma_f32_16x16x32_fp8_fp8 v[164:167], a[84:85], a[4:5], v[164:167]// 00000000A5DC: D3F300A4 1E920954
	v_mfma_f32_16x16x32_fp8_fp8 v[164:167], a[86:87], a[6:7], v[164:167]// 00000000A5E4: D3F300A4 1E920D56
	v_mfma_f32_16x16x32_fp8_fp8 v[172:175], a[88:89], a[0:1], v[172:175]// 00000000A5EC: D3F300AC 1EB20158
	buffer_load_dwordx4 a[188:191], v46, s[84:87], 0 offen offset:1024// 00000000A5F4: E05C1400 8095BC2E
	v_mfma_f32_16x16x32_fp8_fp8 v[172:175], a[90:91], a[2:3], v[172:175]// 00000000A5FC: D3F300AC 1EB2055A
	v_mfma_f32_16x16x32_fp8_fp8 v[172:175], a[92:93], a[4:5], v[172:175]// 00000000A604: D3F300AC 1EB2095C
	v_mfma_f32_16x16x32_fp8_fp8 v[172:175], a[94:95], a[6:7], v[172:175]// 00000000A60C: D3F300AC 1EB20D5E
	v_mfma_f32_16x16x32_fp8_fp8 v[120:123], a[32:33], a[8:9], v[120:123]// 00000000A614: D3F30078 1DE21120
	buffer_load_dwordx4 a[192:195], v47, s[84:87], 0 offen     // 00000000A61C: E05C1000 8095C02F
	v_mfma_f32_16x16x32_fp8_fp8 v[120:123], a[34:35], a[10:11], v[120:123]// 00000000A624: D3F30078 1DE21522
	v_mfma_f32_16x16x32_fp8_fp8 v[120:123], a[36:37], a[12:13], v[120:123]// 00000000A62C: D3F30078 1DE21924
	v_mfma_f32_16x16x32_fp8_fp8 v[120:123], a[38:39], a[14:15], v[120:123]// 00000000A634: D3F30078 1DE21D26
	v_mfma_f32_16x16x32_fp8_fp8 v[128:131], a[40:41], a[8:9], v[128:131]// 00000000A63C: D3F30080 1E021128
	buffer_load_dwordx4 a[196:199], v47, s[84:87], 0 offen offset:1024// 00000000A644: E05C1400 8095C42F
	v_mfma_f32_16x16x32_fp8_fp8 v[128:131], a[42:43], a[10:11], v[128:131]// 00000000A64C: D3F30080 1E02152A
	v_mfma_f32_16x16x32_fp8_fp8 v[128:131], a[44:45], a[12:13], v[128:131]// 00000000A654: D3F30080 1E02192C
	v_mfma_f32_16x16x32_fp8_fp8 v[128:131], a[46:47], a[14:15], v[128:131]// 00000000A65C: D3F30080 1E021D2E
	v_mfma_f32_16x16x32_fp8_fp8 v[136:139], a[48:49], a[8:9], v[136:139]// 00000000A664: D3F30088 1E221130
	buffer_load_dwordx4 a[200:203], v48, s[84:87], 0 offen     // 00000000A66C: E05C1000 8095C830
	v_mfma_f32_16x16x32_fp8_fp8 v[136:139], a[50:51], a[10:11], v[136:139]// 00000000A674: D3F30088 1E221532
	v_mfma_f32_16x16x32_fp8_fp8 v[136:139], a[52:53], a[12:13], v[136:139]// 00000000A67C: D3F30088 1E221934
	v_mfma_f32_16x16x32_fp8_fp8 v[136:139], a[54:55], a[14:15], v[136:139]// 00000000A684: D3F30088 1E221D36
	v_mfma_f32_16x16x32_fp8_fp8 v[144:147], a[56:57], a[8:9], v[144:147]// 00000000A68C: D3F30090 1E421138
	buffer_load_dwordx4 a[204:207], v48, s[84:87], 0 offen offset:1024// 00000000A694: E05C1400 8095CC30
	v_mfma_f32_16x16x32_fp8_fp8 v[144:147], a[58:59], a[10:11], v[144:147]// 00000000A69C: D3F30090 1E42153A
	v_mfma_f32_16x16x32_fp8_fp8 v[144:147], a[60:61], a[12:13], v[144:147]// 00000000A6A4: D3F30090 1E42193C
	v_mfma_f32_16x16x32_fp8_fp8 v[144:147], a[62:63], a[14:15], v[144:147]// 00000000A6AC: D3F30090 1E421D3E
	v_mfma_f32_16x16x32_fp8_fp8 v[152:155], a[64:65], a[8:9], v[152:155]// 00000000A6B4: D3F30098 1E621140
	buffer_load_dwordx4 a[208:211], v49, s[84:87], 0 offen     // 00000000A6BC: E05C1000 8095D031
	v_mfma_f32_16x16x32_fp8_fp8 v[152:155], a[66:67], a[10:11], v[152:155]// 00000000A6C4: D3F30098 1E621542
	v_mfma_f32_16x16x32_fp8_fp8 v[152:155], a[68:69], a[12:13], v[152:155]// 00000000A6CC: D3F30098 1E621944
	v_mfma_f32_16x16x32_fp8_fp8 v[152:155], a[70:71], a[14:15], v[152:155]// 00000000A6D4: D3F30098 1E621D46
	v_mfma_f32_16x16x32_fp8_fp8 v[160:163], a[72:73], a[8:9], v[160:163]// 00000000A6DC: D3F300A0 1E821148
	buffer_load_dwordx4 a[212:215], v49, s[84:87], 0 offen offset:1024// 00000000A6E4: E05C1400 8095D431
	v_mfma_f32_16x16x32_fp8_fp8 v[160:163], a[74:75], a[10:11], v[160:163]// 00000000A6EC: D3F300A0 1E82154A
	v_mfma_f32_16x16x32_fp8_fp8 v[160:163], a[76:77], a[12:13], v[160:163]// 00000000A6F4: D3F300A0 1E82194C
	v_mfma_f32_16x16x32_fp8_fp8 v[160:163], a[78:79], a[14:15], v[160:163]// 00000000A6FC: D3F300A0 1E821D4E
	v_mfma_f32_16x16x32_fp8_fp8 v[168:171], a[80:81], a[8:9], v[168:171]// 00000000A704: D3F300A8 1EA21150
	buffer_load_dwordx4 a[216:219], v50, s[84:87], 0 offen     // 00000000A70C: E05C1000 8095D832
	s_add_u32 s60, 0x180, s80                                  // 00000000A714: 803C50FF 00000180
	s_cmp_lt_u32 s60, s81                                      // 00000000A71C: BF0A513C
	s_cselect_b32 s57, s57, 0                                  // 00000000A720: 85398039
	v_mfma_f32_16x16x32_fp8_fp8 v[168:171], a[82:83], a[10:11], v[168:171]// 00000000A724: D3F300A8 1EA21552
	s_add_u32 s60, 0x100, s80                                  // 00000000A72C: 803C50FF 00000100
	s_cmp_lt_u32 s60, s81                                      // 00000000A734: BF0A513C
	s_cselect_b32 s58, s58, 0                                  // 00000000A738: 853A803A
	v_mfma_f32_16x16x32_fp8_fp8 v[168:171], a[84:85], a[12:13], v[168:171]// 00000000A73C: D3F300A8 1EA21954
	s_add_u32 s60, 0x100, s80                                  // 00000000A744: 803C50FF 00000100
	s_cmp_lt_u32 s60, s81                                      // 00000000A74C: BF0A513C
	s_cselect_b32 s83, s83, 0                                  // 00000000A750: 85538053
	v_mfma_f32_16x16x32_fp8_fp8 v[168:171], a[86:87], a[14:15], v[168:171]// 00000000A754: D3F300A8 1EA21D56
	s_add_u32 s24, s58, s24                                    // 00000000A75C: 8018183A
	s_addc_u32 s25, 0, s25                                     // 00000000A760: 82191980
	v_mfma_f32_16x16x32_fp8_fp8 v[176:179], a[88:89], a[8:9], v[176:179]// 00000000A764: D3F300B0 1EC21158
	buffer_load_dwordx4 a[220:223], v50, s[84:87], 0 offen offset:1024// 00000000A76C: E05C1400 8095DC32
	s_add_u32 s20, s57, s20                                    // 00000000A774: 80141439
	s_addc_u32 s21, 0, s21                                     // 00000000A778: 82151580
	v_mfma_f32_16x16x32_fp8_fp8 v[176:179], a[90:91], a[10:11], v[176:179]// 00000000A77C: D3F300B0 1EC2155A
	s_add_u32 s84, s83, s84                                    // 00000000A784: 80545453
	s_addc_u32 s85, 0, s85                                     // 00000000A788: 82555580
	v_mfma_f32_16x16x32_fp8_fp8 v[176:179], a[92:93], a[12:13], v[176:179]// 00000000A78C: D3F300B0 1EC2195C
	v_mfma_f32_16x16x32_fp8_fp8 v[176:179], a[94:95], a[14:15], v[176:179]// 00000000A794: D3F300B0 1EC21D5E
	s_addk_i32 s80, 0x80                                       // 00000000A79C: B7500080
	s_cmp_lt_i32 s80, s81                                      // 00000000A7A0: BF045150
	s_cbranch_scc0 label_20DD                                  // 00000000A7A4: BF840170
	s_waitcnt vmcnt(20) lgkmcnt(0)                             // 00000000A7A8: BF8C4074
	v_mfma_f32_16x16x32_fp8_fp8 v[52:55], a[96:97], a[16:17], v[52:55]// 00000000A7AC: D3F30034 1CD22160
	buffer_load_dwordx4 a[32:35], v43, s[24:27], 0 offen       // 00000000A7B4: E05C1000 8086202B
	v_mfma_f32_16x16x32_fp8_fp8 v[52:55], a[98:99], a[18:19], v[52:55]// 00000000A7BC: D3F30034 1CD22562
	v_mfma_f32_16x16x32_fp8_fp8 v[52:55], a[100:101], a[20:21], v[52:55]// 00000000A7C4: D3F30034 1CD22964
	v_mfma_f32_16x16x32_fp8_fp8 v[52:55], a[102:103], a[22:23], v[52:55]// 00000000A7CC: D3F30034 1CD22D66
	v_mfma_f32_16x16x32_fp8_fp8 v[60:63], a[104:105], a[16:17], v[60:63]// 00000000A7D4: D3F3003C 1CF22168
	buffer_load_dwordx4 a[36:39], v43, s[24:27], 0 offen offset:1024// 00000000A7DC: E05C1400 8086242B
	v_mfma_f32_16x16x32_fp8_fp8 v[60:63], a[106:107], a[18:19], v[60:63]// 00000000A7E4: D3F3003C 1CF2256A
	v_mfma_f32_16x16x32_fp8_fp8 v[60:63], a[108:109], a[20:21], v[60:63]// 00000000A7EC: D3F3003C 1CF2296C
	v_mfma_f32_16x16x32_fp8_fp8 v[60:63], a[110:111], a[22:23], v[60:63]// 00000000A7F4: D3F3003C 1CF22D6E
	v_mfma_f32_16x16x32_fp8_fp8 v[68:71], a[112:113], a[16:17], v[68:71]// 00000000A7FC: D3F30044 1D122170
	buffer_load_dwordx4 a[40:43], v44, s[24:27], 0 offen       // 00000000A804: E05C1000 8086282C
	v_mfma_f32_16x16x32_fp8_fp8 v[68:71], a[114:115], a[18:19], v[68:71]// 00000000A80C: D3F30044 1D122572
	v_mfma_f32_16x16x32_fp8_fp8 v[68:71], a[116:117], a[20:21], v[68:71]// 00000000A814: D3F30044 1D122974
	v_mfma_f32_16x16x32_fp8_fp8 v[68:71], a[118:119], a[22:23], v[68:71]// 00000000A81C: D3F30044 1D122D76
	v_mfma_f32_16x16x32_fp8_fp8 v[76:79], a[120:121], a[16:17], v[76:79]// 00000000A824: D3F3004C 1D322178
	buffer_load_dwordx4 a[44:47], v44, s[24:27], 0 offen offset:1024// 00000000A82C: E05C1400 80862C2C
	v_mfma_f32_16x16x32_fp8_fp8 v[76:79], a[122:123], a[18:19], v[76:79]// 00000000A834: D3F3004C 1D32257A
	v_mfma_f32_16x16x32_fp8_fp8 v[76:79], a[124:125], a[20:21], v[76:79]// 00000000A83C: D3F3004C 1D32297C
	v_mfma_f32_16x16x32_fp8_fp8 v[76:79], a[126:127], a[22:23], v[76:79]// 00000000A844: D3F3004C 1D322D7E
	v_mfma_f32_16x16x32_fp8_fp8 v[84:87], a[128:129], a[16:17], v[84:87]// 00000000A84C: D3F30054 1D522180
	buffer_load_dwordx4 a[48:51], v45, s[24:27], 0 offen       // 00000000A854: E05C1000 8086302D
	v_mfma_f32_16x16x32_fp8_fp8 v[84:87], a[130:131], a[18:19], v[84:87]// 00000000A85C: D3F30054 1D522582
	v_mfma_f32_16x16x32_fp8_fp8 v[84:87], a[132:133], a[20:21], v[84:87]// 00000000A864: D3F30054 1D522984
	v_mfma_f32_16x16x32_fp8_fp8 v[84:87], a[134:135], a[22:23], v[84:87]// 00000000A86C: D3F30054 1D522D86
	v_mfma_f32_16x16x32_fp8_fp8 v[92:95], a[136:137], a[16:17], v[92:95]// 00000000A874: D3F3005C 1D722188
	buffer_load_dwordx4 a[52:55], v45, s[24:27], 0 offen offset:1024// 00000000A87C: E05C1400 8086342D
	v_mfma_f32_16x16x32_fp8_fp8 v[92:95], a[138:139], a[18:19], v[92:95]// 00000000A884: D3F3005C 1D72258A
	v_mfma_f32_16x16x32_fp8_fp8 v[92:95], a[140:141], a[20:21], v[92:95]// 00000000A88C: D3F3005C 1D72298C
	v_mfma_f32_16x16x32_fp8_fp8 v[92:95], a[142:143], a[22:23], v[92:95]// 00000000A894: D3F3005C 1D722D8E
	v_mfma_f32_16x16x32_fp8_fp8 v[100:103], a[144:145], a[16:17], v[100:103]// 00000000A89C: D3F30064 1D922190
	buffer_load_dwordx4 a[56:59], v46, s[24:27], 0 offen       // 00000000A8A4: E05C1000 8086382E
	v_mfma_f32_16x16x32_fp8_fp8 v[100:103], a[146:147], a[18:19], v[100:103]// 00000000A8AC: D3F30064 1D922592
	v_mfma_f32_16x16x32_fp8_fp8 v[100:103], a[148:149], a[20:21], v[100:103]// 00000000A8B4: D3F30064 1D922994
	v_mfma_f32_16x16x32_fp8_fp8 v[100:103], a[150:151], a[22:23], v[100:103]// 00000000A8BC: D3F30064 1D922D96
	v_mfma_f32_16x16x32_fp8_fp8 v[108:111], a[152:153], a[16:17], v[108:111]// 00000000A8C4: D3F3006C 1DB22198
	buffer_load_dwordx4 a[60:63], v46, s[24:27], 0 offen offset:1024// 00000000A8CC: E05C1400 80863C2E
	v_mfma_f32_16x16x32_fp8_fp8 v[108:111], a[154:155], a[18:19], v[108:111]// 00000000A8D4: D3F3006C 1DB2259A
	v_mfma_f32_16x16x32_fp8_fp8 v[108:111], a[156:157], a[20:21], v[108:111]// 00000000A8DC: D3F3006C 1DB2299C
	v_mfma_f32_16x16x32_fp8_fp8 v[108:111], a[158:159], a[22:23], v[108:111]// 00000000A8E4: D3F3006C 1DB22D9E
	v_mfma_f32_16x16x32_fp8_fp8 v[56:59], a[96:97], a[24:25], v[56:59]// 00000000A8EC: D3F30038 1CE23160
	buffer_load_dwordx4 a[64:67], v47, s[24:27], 0 offen       // 00000000A8F4: E05C1000 8086402F
	v_mfma_f32_16x16x32_fp8_fp8 v[56:59], a[98:99], a[26:27], v[56:59]// 00000000A8FC: D3F30038 1CE23562
	v_mfma_f32_16x16x32_fp8_fp8 v[56:59], a[100:101], a[28:29], v[56:59]// 00000000A904: D3F30038 1CE23964
	v_mfma_f32_16x16x32_fp8_fp8 v[56:59], a[102:103], a[30:31], v[56:59]// 00000000A90C: D3F30038 1CE23D66
	v_mfma_f32_16x16x32_fp8_fp8 v[64:67], a[104:105], a[24:25], v[64:67]// 00000000A914: D3F30040 1D023168
	buffer_load_dwordx4 a[68:71], v47, s[24:27], 0 offen offset:1024// 00000000A91C: E05C1400 8086442F
	v_mfma_f32_16x16x32_fp8_fp8 v[64:67], a[106:107], a[26:27], v[64:67]// 00000000A924: D3F30040 1D02356A
	v_mfma_f32_16x16x32_fp8_fp8 v[64:67], a[108:109], a[28:29], v[64:67]// 00000000A92C: D3F30040 1D02396C
	v_mfma_f32_16x16x32_fp8_fp8 v[64:67], a[110:111], a[30:31], v[64:67]// 00000000A934: D3F30040 1D023D6E
	v_mfma_f32_16x16x32_fp8_fp8 v[72:75], a[112:113], a[24:25], v[72:75]// 00000000A93C: D3F30048 1D223170
	buffer_load_dwordx4 a[72:75], v48, s[24:27], 0 offen       // 00000000A944: E05C1000 80864830
	v_mfma_f32_16x16x32_fp8_fp8 v[72:75], a[114:115], a[26:27], v[72:75]// 00000000A94C: D3F30048 1D223572
	v_mfma_f32_16x16x32_fp8_fp8 v[72:75], a[116:117], a[28:29], v[72:75]// 00000000A954: D3F30048 1D223974
	v_mfma_f32_16x16x32_fp8_fp8 v[72:75], a[118:119], a[30:31], v[72:75]// 00000000A95C: D3F30048 1D223D76
	v_mfma_f32_16x16x32_fp8_fp8 v[80:83], a[120:121], a[24:25], v[80:83]// 00000000A964: D3F30050 1D423178
	buffer_load_dwordx4 a[76:79], v48, s[24:27], 0 offen offset:1024// 00000000A96C: E05C1400 80864C30
	v_mfma_f32_16x16x32_fp8_fp8 v[80:83], a[122:123], a[26:27], v[80:83]// 00000000A974: D3F30050 1D42357A
	v_mfma_f32_16x16x32_fp8_fp8 v[80:83], a[124:125], a[28:29], v[80:83]// 00000000A97C: D3F30050 1D42397C
	v_mfma_f32_16x16x32_fp8_fp8 v[80:83], a[126:127], a[30:31], v[80:83]// 00000000A984: D3F30050 1D423D7E
	v_mfma_f32_16x16x32_fp8_fp8 v[88:91], a[128:129], a[24:25], v[88:91]// 00000000A98C: D3F30058 1D623180
	buffer_load_dwordx4 a[80:83], v49, s[24:27], 0 offen       // 00000000A994: E05C1000 80865031
	v_mfma_f32_16x16x32_fp8_fp8 v[88:91], a[130:131], a[26:27], v[88:91]// 00000000A99C: D3F30058 1D623582
	v_mfma_f32_16x16x32_fp8_fp8 v[88:91], a[132:133], a[28:29], v[88:91]// 00000000A9A4: D3F30058 1D623984
	v_mfma_f32_16x16x32_fp8_fp8 v[88:91], a[134:135], a[30:31], v[88:91]// 00000000A9AC: D3F30058 1D623D86
	v_mfma_f32_16x16x32_fp8_fp8 v[96:99], a[136:137], a[24:25], v[96:99]// 00000000A9B4: D3F30060 1D823188
	buffer_load_dwordx4 a[84:87], v49, s[24:27], 0 offen offset:1024// 00000000A9BC: E05C1400 80865431
	v_mfma_f32_16x16x32_fp8_fp8 v[96:99], a[138:139], a[26:27], v[96:99]// 00000000A9C4: D3F30060 1D82358A
	v_mfma_f32_16x16x32_fp8_fp8 v[96:99], a[140:141], a[28:29], v[96:99]// 00000000A9CC: D3F30060 1D82398C
	v_mfma_f32_16x16x32_fp8_fp8 v[96:99], a[142:143], a[30:31], v[96:99]// 00000000A9D4: D3F30060 1D823D8E
	v_mfma_f32_16x16x32_fp8_fp8 v[104:107], a[144:145], a[24:25], v[104:107]// 00000000A9DC: D3F30068 1DA23190
	buffer_load_dwordx4 a[88:91], v50, s[24:27], 0 offen       // 00000000A9E4: E05C1000 80865832
	v_mfma_f32_16x16x32_fp8_fp8 v[104:107], a[146:147], a[26:27], v[104:107]// 00000000A9EC: D3F30068 1DA23592
	v_mfma_f32_16x16x32_fp8_fp8 v[104:107], a[148:149], a[28:29], v[104:107]// 00000000A9F4: D3F30068 1DA23994
	v_mfma_f32_16x16x32_fp8_fp8 v[104:107], a[150:151], a[30:31], v[104:107]// 00000000A9FC: D3F30068 1DA23D96
	v_mfma_f32_16x16x32_fp8_fp8 v[112:115], a[152:153], a[24:25], v[112:115]// 00000000AA04: D3F30070 1DC23198
	buffer_load_dwordx4 a[92:95], v50, s[24:27], 0 offen offset:1024// 00000000AA0C: E05C1400 80865C32
	buffer_load_dword v39, s[20:23], 0 offen lds               // 00000000AA14: E0511000 80050027
	s_add_u32 m0, 0x100, s49                                   // 00000000AA1C: 807C31FF 00000100
	v_mfma_f32_16x16x32_fp8_fp8 v[112:115], a[154:155], a[26:27], v[112:115]// 00000000AA24: D3F30070 1DC2359A
	v_mfma_f32_16x16x32_fp8_fp8 v[112:115], a[156:157], a[28:29], v[112:115]// 00000000AA2C: D3F30070 1DC2399C
	buffer_load_dword v40, s[20:23], 0 offen lds               // 00000000AA34: E0511000 80050028
	s_add_u32 m0, 0x200, s49                                   // 00000000AA3C: 807C31FF 00000200
	v_mfma_f32_16x16x32_fp8_fp8 v[112:115], a[158:159], a[30:31], v[112:115]// 00000000AA44: D3F30070 1DC23D9E
	buffer_load_dword v41, s[20:23], 0 offen lds               // 00000000AA4C: E0511000 80050029
	s_add_u32 m0, 0x300, s49                                   // 00000000AA54: 807C31FF 00000300
	buffer_load_dword v42, s[20:23], 0 offen lds               // 00000000AA5C: E0511000 8005002A
	s_add_u32 m0, 0, s50                                       // 00000000AA64: 807C3280
	s_waitcnt vmcnt(20)                                        // 00000000AA68: BF8C4F74
	s_barrier                                                  // 00000000AA6C: BF8A0000
	v_mfma_f32_16x16x32_fp8_fp8 v[116:119], a[160:161], a[16:17], v[116:119]// 00000000AA70: D3F30074 1DD221A0
	buffer_load_dwordx4 a[96:99], v43, s[84:87], 0 offen       // 00000000AA78: E05C1000 8095602B
	v_mfma_f32_16x16x32_fp8_fp8 v[116:119], a[162:163], a[18:19], v[116:119]// 00000000AA80: D3F30074 1DD225A2
	v_mfma_f32_16x16x32_fp8_fp8 v[116:119], a[164:165], a[20:21], v[116:119]// 00000000AA88: D3F30074 1DD229A4
	ds_read_b128 a[0:3], v2                                    // 00000000AA90: DBFE0000 00000002
	ds_read_b128 a[4:7], v2 offset:64                          // 00000000AA98: DBFE0040 04000002
	v_mfma_f32_16x16x32_fp8_fp8 v[116:119], a[166:167], a[22:23], v[116:119]// 00000000AAA0: D3F30074 1DD22DA6
	v_mfma_f32_16x16x32_fp8_fp8 v[124:127], a[168:169], a[16:17], v[124:127]// 00000000AAA8: D3F3007C 1DF221A8
	buffer_load_dwordx4 a[100:103], v43, s[84:87], 0 offen offset:1024// 00000000AAB0: E05C1400 8095642B
	v_mfma_f32_16x16x32_fp8_fp8 v[124:127], a[170:171], a[18:19], v[124:127]// 00000000AAB8: D3F3007C 1DF225AA
	v_mfma_f32_16x16x32_fp8_fp8 v[124:127], a[172:173], a[20:21], v[124:127]// 00000000AAC0: D3F3007C 1DF229AC
	ds_read_b128 a[8:11], v2 offset:512                        // 00000000AAC8: DBFE0200 08000002
	ds_read_b128 a[12:15], v2 offset:576                       // 00000000AAD0: DBFE0240 0C000002
	v_mfma_f32_16x16x32_fp8_fp8 v[124:127], a[174:175], a[22:23], v[124:127]// 00000000AAD8: D3F3007C 1DF22DAE
	v_mfma_f32_16x16x32_fp8_fp8 v[132:135], a[176:177], a[16:17], v[132:135]// 00000000AAE0: D3F30084 1E1221B0
	buffer_load_dwordx4 a[104:107], v44, s[84:87], 0 offen     // 00000000AAE8: E05C1000 8095682C
	v_mfma_f32_16x16x32_fp8_fp8 v[132:135], a[178:179], a[18:19], v[132:135]// 00000000AAF0: D3F30084 1E1225B2
	v_mfma_f32_16x16x32_fp8_fp8 v[132:135], a[180:181], a[20:21], v[132:135]// 00000000AAF8: D3F30084 1E1229B4
	v_mfma_f32_16x16x32_fp8_fp8 v[132:135], a[182:183], a[22:23], v[132:135]// 00000000AB00: D3F30084 1E122DB6
	v_mfma_f32_16x16x32_fp8_fp8 v[140:143], a[184:185], a[16:17], v[140:143]// 00000000AB08: D3F3008C 1E3221B8
	buffer_load_dwordx4 a[108:111], v44, s[84:87], 0 offen offset:1024// 00000000AB10: E05C1400 80956C2C
	v_mfma_f32_16x16x32_fp8_fp8 v[140:143], a[186:187], a[18:19], v[140:143]// 00000000AB18: D3F3008C 1E3225BA
	v_mfma_f32_16x16x32_fp8_fp8 v[140:143], a[188:189], a[20:21], v[140:143]// 00000000AB20: D3F3008C 1E3229BC
	v_mfma_f32_16x16x32_fp8_fp8 v[140:143], a[190:191], a[22:23], v[140:143]// 00000000AB28: D3F3008C 1E322DBE
	v_mfma_f32_16x16x32_fp8_fp8 v[148:151], a[192:193], a[16:17], v[148:151]// 00000000AB30: D3F30094 1E5221C0
	buffer_load_dwordx4 a[112:115], v45, s[84:87], 0 offen     // 00000000AB38: E05C1000 8095702D
	v_mfma_f32_16x16x32_fp8_fp8 v[148:151], a[194:195], a[18:19], v[148:151]// 00000000AB40: D3F30094 1E5225C2
	v_mfma_f32_16x16x32_fp8_fp8 v[148:151], a[196:197], a[20:21], v[148:151]// 00000000AB48: D3F30094 1E5229C4
	v_mfma_f32_16x16x32_fp8_fp8 v[148:151], a[198:199], a[22:23], v[148:151]// 00000000AB50: D3F30094 1E522DC6
	v_mfma_f32_16x16x32_fp8_fp8 v[156:159], a[200:201], a[16:17], v[156:159]// 00000000AB58: D3F3009C 1E7221C8
	buffer_load_dwordx4 a[116:119], v45, s[84:87], 0 offen offset:1024// 00000000AB60: E05C1400 8095742D
	v_mfma_f32_16x16x32_fp8_fp8 v[156:159], a[202:203], a[18:19], v[156:159]// 00000000AB68: D3F3009C 1E7225CA
	v_mfma_f32_16x16x32_fp8_fp8 v[156:159], a[204:205], a[20:21], v[156:159]// 00000000AB70: D3F3009C 1E7229CC
	v_mfma_f32_16x16x32_fp8_fp8 v[156:159], a[206:207], a[22:23], v[156:159]// 00000000AB78: D3F3009C 1E722DCE
	v_mfma_f32_16x16x32_fp8_fp8 v[164:167], a[208:209], a[16:17], v[164:167]// 00000000AB80: D3F300A4 1E9221D0
	buffer_load_dwordx4 a[120:123], v46, s[84:87], 0 offen     // 00000000AB88: E05C1000 8095782E
	v_mfma_f32_16x16x32_fp8_fp8 v[164:167], a[210:211], a[18:19], v[164:167]// 00000000AB90: D3F300A4 1E9225D2
	v_mfma_f32_16x16x32_fp8_fp8 v[164:167], a[212:213], a[20:21], v[164:167]// 00000000AB98: D3F300A4 1E9229D4
	v_mfma_f32_16x16x32_fp8_fp8 v[164:167], a[214:215], a[22:23], v[164:167]// 00000000ABA0: D3F300A4 1E922DD6
	v_mfma_f32_16x16x32_fp8_fp8 v[172:175], a[216:217], a[16:17], v[172:175]// 00000000ABA8: D3F300AC 1EB221D8
	buffer_load_dwordx4 a[124:127], v46, s[84:87], 0 offen offset:1024// 00000000ABB0: E05C1400 80957C2E
	v_mfma_f32_16x16x32_fp8_fp8 v[172:175], a[218:219], a[18:19], v[172:175]// 00000000ABB8: D3F300AC 1EB225DA
	v_mfma_f32_16x16x32_fp8_fp8 v[172:175], a[220:221], a[20:21], v[172:175]// 00000000ABC0: D3F300AC 1EB229DC
	v_mfma_f32_16x16x32_fp8_fp8 v[172:175], a[222:223], a[22:23], v[172:175]// 00000000ABC8: D3F300AC 1EB22DDE
	v_mfma_f32_16x16x32_fp8_fp8 v[120:123], a[160:161], a[24:25], v[120:123]// 00000000ABD0: D3F30078 1DE231A0
	buffer_load_dwordx4 a[128:131], v47, s[84:87], 0 offen     // 00000000ABD8: E05C1000 8095802F
	v_mfma_f32_16x16x32_fp8_fp8 v[120:123], a[162:163], a[26:27], v[120:123]// 00000000ABE0: D3F30078 1DE235A2
	v_mfma_f32_16x16x32_fp8_fp8 v[120:123], a[164:165], a[28:29], v[120:123]// 00000000ABE8: D3F30078 1DE239A4
	v_mfma_f32_16x16x32_fp8_fp8 v[120:123], a[166:167], a[30:31], v[120:123]// 00000000ABF0: D3F30078 1DE23DA6
	v_mfma_f32_16x16x32_fp8_fp8 v[128:131], a[168:169], a[24:25], v[128:131]// 00000000ABF8: D3F30080 1E0231A8
	buffer_load_dwordx4 a[132:135], v47, s[84:87], 0 offen offset:1024// 00000000AC00: E05C1400 8095842F
	v_mfma_f32_16x16x32_fp8_fp8 v[128:131], a[170:171], a[26:27], v[128:131]// 00000000AC08: D3F30080 1E0235AA
	v_mfma_f32_16x16x32_fp8_fp8 v[128:131], a[172:173], a[28:29], v[128:131]// 00000000AC10: D3F30080 1E0239AC
	v_mfma_f32_16x16x32_fp8_fp8 v[128:131], a[174:175], a[30:31], v[128:131]// 00000000AC18: D3F30080 1E023DAE
	v_mfma_f32_16x16x32_fp8_fp8 v[136:139], a[176:177], a[24:25], v[136:139]// 00000000AC20: D3F30088 1E2231B0
	buffer_load_dwordx4 a[136:139], v48, s[84:87], 0 offen     // 00000000AC28: E05C1000 80958830
	v_mfma_f32_16x16x32_fp8_fp8 v[136:139], a[178:179], a[26:27], v[136:139]// 00000000AC30: D3F30088 1E2235B2
	v_mfma_f32_16x16x32_fp8_fp8 v[136:139], a[180:181], a[28:29], v[136:139]// 00000000AC38: D3F30088 1E2239B4
	v_mfma_f32_16x16x32_fp8_fp8 v[136:139], a[182:183], a[30:31], v[136:139]// 00000000AC40: D3F30088 1E223DB6
	v_mfma_f32_16x16x32_fp8_fp8 v[144:147], a[184:185], a[24:25], v[144:147]// 00000000AC48: D3F30090 1E4231B8
	buffer_load_dwordx4 a[140:143], v48, s[84:87], 0 offen offset:1024// 00000000AC50: E05C1400 80958C30
	v_mfma_f32_16x16x32_fp8_fp8 v[144:147], a[186:187], a[26:27], v[144:147]// 00000000AC58: D3F30090 1E4235BA
	v_mfma_f32_16x16x32_fp8_fp8 v[144:147], a[188:189], a[28:29], v[144:147]// 00000000AC60: D3F30090 1E4239BC
	v_mfma_f32_16x16x32_fp8_fp8 v[144:147], a[190:191], a[30:31], v[144:147]// 00000000AC68: D3F30090 1E423DBE
	v_mfma_f32_16x16x32_fp8_fp8 v[152:155], a[192:193], a[24:25], v[152:155]// 00000000AC70: D3F30098 1E6231C0
	buffer_load_dwordx4 a[144:147], v49, s[84:87], 0 offen     // 00000000AC78: E05C1000 80959031
	v_mfma_f32_16x16x32_fp8_fp8 v[152:155], a[194:195], a[26:27], v[152:155]// 00000000AC80: D3F30098 1E6235C2
	v_mfma_f32_16x16x32_fp8_fp8 v[152:155], a[196:197], a[28:29], v[152:155]// 00000000AC88: D3F30098 1E6239C4
	v_mfma_f32_16x16x32_fp8_fp8 v[152:155], a[198:199], a[30:31], v[152:155]// 00000000AC90: D3F30098 1E623DC6
	v_mfma_f32_16x16x32_fp8_fp8 v[160:163], a[200:201], a[24:25], v[160:163]// 00000000AC98: D3F300A0 1E8231C8
	buffer_load_dwordx4 a[148:151], v49, s[84:87], 0 offen offset:1024// 00000000ACA0: E05C1400 80959431
	v_mfma_f32_16x16x32_fp8_fp8 v[160:163], a[202:203], a[26:27], v[160:163]// 00000000ACA8: D3F300A0 1E8235CA
	v_mfma_f32_16x16x32_fp8_fp8 v[160:163], a[204:205], a[28:29], v[160:163]// 00000000ACB0: D3F300A0 1E8239CC
	v_mfma_f32_16x16x32_fp8_fp8 v[160:163], a[206:207], a[30:31], v[160:163]// 00000000ACB8: D3F300A0 1E823DCE
	v_mfma_f32_16x16x32_fp8_fp8 v[168:171], a[208:209], a[24:25], v[168:171]// 00000000ACC0: D3F300A8 1EA231D0
	buffer_load_dwordx4 a[152:155], v50, s[84:87], 0 offen     // 00000000ACC8: E05C1000 80959832
	s_add_u32 s60, 0x180, s80                                  // 00000000ACD0: 803C50FF 00000180
	s_cmp_lt_u32 s60, s81                                      // 00000000ACD8: BF0A513C
	s_cselect_b32 s57, s57, 0                                  // 00000000ACDC: 85398039
	v_mfma_f32_16x16x32_fp8_fp8 v[168:171], a[210:211], a[26:27], v[168:171]// 00000000ACE0: D3F300A8 1EA235D2
	s_add_u32 s60, 0x100, s80                                  // 00000000ACE8: 803C50FF 00000100
	s_cmp_lt_u32 s60, s81                                      // 00000000ACF0: BF0A513C
	s_cselect_b32 s58, s58, 0                                  // 00000000ACF4: 853A803A
	v_mfma_f32_16x16x32_fp8_fp8 v[168:171], a[212:213], a[28:29], v[168:171]// 00000000ACF8: D3F300A8 1EA239D4
	s_add_u32 s60, 0x100, s80                                  // 00000000AD00: 803C50FF 00000100
	s_cmp_lt_u32 s60, s81                                      // 00000000AD08: BF0A513C
	s_cselect_b32 s83, s83, 0                                  // 00000000AD0C: 85538053
	v_mfma_f32_16x16x32_fp8_fp8 v[168:171], a[214:215], a[30:31], v[168:171]// 00000000AD10: D3F300A8 1EA23DD6
	s_add_u32 s24, s58, s24                                    // 00000000AD18: 8018183A
	s_addc_u32 s25, 0, s25                                     // 00000000AD1C: 82191980
	v_mfma_f32_16x16x32_fp8_fp8 v[176:179], a[216:217], a[24:25], v[176:179]// 00000000AD20: D3F300B0 1EC231D8
	buffer_load_dwordx4 a[156:159], v50, s[84:87], 0 offen offset:1024// 00000000AD28: E05C1400 80959C32
	s_add_u32 s20, s57, s20                                    // 00000000AD30: 80141439
	s_addc_u32 s21, 0, s21                                     // 00000000AD34: 82151580
	v_mfma_f32_16x16x32_fp8_fp8 v[176:179], a[218:219], a[26:27], v[176:179]// 00000000AD38: D3F300B0 1EC235DA
	s_add_u32 s84, s83, s84                                    // 00000000AD40: 80545453
	s_addc_u32 s85, 0, s85                                     // 00000000AD44: 82555580
	v_mfma_f32_16x16x32_fp8_fp8 v[176:179], a[220:221], a[28:29], v[176:179]// 00000000AD48: D3F300B0 1EC239DC
	v_mfma_f32_16x16x32_fp8_fp8 v[176:179], a[222:223], a[30:31], v[176:179]// 00000000AD50: D3F300B0 1EC23DDE
	s_addk_i32 s80, 0x80                                       // 00000000AD58: B7500080
	s_cmp_lt_i32 s80, s81                                      // 00000000AD5C: BF045150
	s_cbranch_scc0 label_20DD                                  // 00000000AD60: BF840001
	s_branch label_1842                                        // 00000000AD64: BF82F765

000000000000ad68 <label_20DD>:
	v_mul_f32_dpp v52, v25, v52 row_newbcast:0 row_mask:0xf bank_mask:0xf// 00000000AD68: 0A6868FA FF015019
	v_mul_f32_dpp v53, v25, v53 row_newbcast:1 row_mask:0xf bank_mask:0xf// 00000000AD70: 0A6A6AFA FF015119
	v_mul_f32_dpp v54, v25, v54 row_newbcast:2 row_mask:0xf bank_mask:0xf// 00000000AD78: 0A6C6CFA FF015219
	v_mul_f32_dpp v55, v25, v55 row_newbcast:3 row_mask:0xf bank_mask:0xf// 00000000AD80: 0A6E6EFA FF015319
	v_mul_f32_dpp v56, v25, v56 row_newbcast:0 row_mask:0xf bank_mask:0xf// 00000000AD88: 0A7070FA FF015019
	v_mul_f32_dpp v57, v25, v57 row_newbcast:1 row_mask:0xf bank_mask:0xf// 00000000AD90: 0A7272FA FF015119
	v_mul_f32_dpp v58, v25, v58 row_newbcast:2 row_mask:0xf bank_mask:0xf// 00000000AD98: 0A7474FA FF015219
	v_mul_f32_dpp v59, v25, v59 row_newbcast:3 row_mask:0xf bank_mask:0xf// 00000000ADA0: 0A7676FA FF015319
	v_mul_f32_dpp v60, v25, v60 row_newbcast:4 row_mask:0xf bank_mask:0xf// 00000000ADA8: 0A7878FA FF015419
	v_mul_f32_dpp v61, v25, v61 row_newbcast:5 row_mask:0xf bank_mask:0xf// 00000000ADB0: 0A7A7AFA FF015519
	v_mul_f32_dpp v62, v25, v62 row_newbcast:6 row_mask:0xf bank_mask:0xf// 00000000ADB8: 0A7C7CFA FF015619
	v_mul_f32_dpp v63, v25, v63 row_newbcast:7 row_mask:0xf bank_mask:0xf// 00000000ADC0: 0A7E7EFA FF015719
	v_mul_f32_dpp v64, v25, v64 row_newbcast:4 row_mask:0xf bank_mask:0xf// 00000000ADC8: 0A8080FA FF015419
	v_mul_f32_dpp v65, v25, v65 row_newbcast:5 row_mask:0xf bank_mask:0xf// 00000000ADD0: 0A8282FA FF015519
	v_mul_f32_dpp v66, v25, v66 row_newbcast:6 row_mask:0xf bank_mask:0xf// 00000000ADD8: 0A8484FA FF015619
	v_mul_f32_dpp v67, v25, v67 row_newbcast:7 row_mask:0xf bank_mask:0xf// 00000000ADE0: 0A8686FA FF015719
	v_mul_f32_dpp v68, v25, v68 row_newbcast:8 row_mask:0xf bank_mask:0xf// 00000000ADE8: 0A8888FA FF015819
	v_mul_f32_dpp v69, v25, v69 row_newbcast:9 row_mask:0xf bank_mask:0xf// 00000000ADF0: 0A8A8AFA FF015919
	v_mul_f32_dpp v70, v25, v70 row_newbcast:10 row_mask:0xf bank_mask:0xf// 00000000ADF8: 0A8C8CFA FF015A19
	v_mul_f32_dpp v71, v25, v71 row_newbcast:11 row_mask:0xf bank_mask:0xf// 00000000AE00: 0A8E8EFA FF015B19
	v_mul_f32_dpp v72, v25, v72 row_newbcast:8 row_mask:0xf bank_mask:0xf// 00000000AE08: 0A9090FA FF015819
	v_mul_f32_dpp v73, v25, v73 row_newbcast:9 row_mask:0xf bank_mask:0xf// 00000000AE10: 0A9292FA FF015919
	v_mul_f32_dpp v74, v25, v74 row_newbcast:10 row_mask:0xf bank_mask:0xf// 00000000AE18: 0A9494FA FF015A19
	v_mul_f32_dpp v75, v25, v75 row_newbcast:11 row_mask:0xf bank_mask:0xf// 00000000AE20: 0A9696FA FF015B19
	v_mul_f32_dpp v76, v25, v76 row_newbcast:12 row_mask:0xf bank_mask:0xf// 00000000AE28: 0A9898FA FF015C19
	v_mul_f32_dpp v77, v25, v77 row_newbcast:13 row_mask:0xf bank_mask:0xf// 00000000AE30: 0A9A9AFA FF015D19
	v_mul_f32_dpp v78, v25, v78 row_newbcast:14 row_mask:0xf bank_mask:0xf// 00000000AE38: 0A9C9CFA FF015E19
	v_mul_f32_dpp v79, v25, v79 row_newbcast:15 row_mask:0xf bank_mask:0xf// 00000000AE40: 0A9E9EFA FF015F19
	v_mul_f32_dpp v80, v25, v80 row_newbcast:12 row_mask:0xf bank_mask:0xf// 00000000AE48: 0AA0A0FA FF015C19
	v_mul_f32_dpp v81, v25, v81 row_newbcast:13 row_mask:0xf bank_mask:0xf// 00000000AE50: 0AA2A2FA FF015D19
	v_mul_f32_dpp v82, v25, v82 row_newbcast:14 row_mask:0xf bank_mask:0xf// 00000000AE58: 0AA4A4FA FF015E19
	v_mul_f32_dpp v83, v25, v83 row_newbcast:15 row_mask:0xf bank_mask:0xf// 00000000AE60: 0AA6A6FA FF015F19
	v_mul_f32_dpp v84, v26, v84 row_newbcast:0 row_mask:0xf bank_mask:0xf// 00000000AE68: 0AA8A8FA FF01501A
	v_mul_f32_dpp v85, v26, v85 row_newbcast:1 row_mask:0xf bank_mask:0xf// 00000000AE70: 0AAAAAFA FF01511A
	v_mul_f32_dpp v86, v26, v86 row_newbcast:2 row_mask:0xf bank_mask:0xf// 00000000AE78: 0AACACFA FF01521A
	v_mul_f32_dpp v87, v26, v87 row_newbcast:3 row_mask:0xf bank_mask:0xf// 00000000AE80: 0AAEAEFA FF01531A
	v_mul_f32_dpp v88, v26, v88 row_newbcast:0 row_mask:0xf bank_mask:0xf// 00000000AE88: 0AB0B0FA FF01501A
	v_mul_f32_dpp v89, v26, v89 row_newbcast:1 row_mask:0xf bank_mask:0xf// 00000000AE90: 0AB2B2FA FF01511A
	v_mul_f32_dpp v90, v26, v90 row_newbcast:2 row_mask:0xf bank_mask:0xf// 00000000AE98: 0AB4B4FA FF01521A
	v_mul_f32_dpp v91, v26, v91 row_newbcast:3 row_mask:0xf bank_mask:0xf// 00000000AEA0: 0AB6B6FA FF01531A
	v_mul_f32_dpp v92, v26, v92 row_newbcast:4 row_mask:0xf bank_mask:0xf// 00000000AEA8: 0AB8B8FA FF01541A
	v_mul_f32_dpp v93, v26, v93 row_newbcast:5 row_mask:0xf bank_mask:0xf// 00000000AEB0: 0ABABAFA FF01551A
	v_mul_f32_dpp v94, v26, v94 row_newbcast:6 row_mask:0xf bank_mask:0xf// 00000000AEB8: 0ABCBCFA FF01561A
	v_mul_f32_dpp v95, v26, v95 row_newbcast:7 row_mask:0xf bank_mask:0xf// 00000000AEC0: 0ABEBEFA FF01571A
	v_mul_f32_dpp v96, v26, v96 row_newbcast:4 row_mask:0xf bank_mask:0xf// 00000000AEC8: 0AC0C0FA FF01541A
	v_mul_f32_dpp v97, v26, v97 row_newbcast:5 row_mask:0xf bank_mask:0xf// 00000000AED0: 0AC2C2FA FF01551A
	v_mul_f32_dpp v98, v26, v98 row_newbcast:6 row_mask:0xf bank_mask:0xf// 00000000AED8: 0AC4C4FA FF01561A
	v_mul_f32_dpp v99, v26, v99 row_newbcast:7 row_mask:0xf bank_mask:0xf// 00000000AEE0: 0AC6C6FA FF01571A
	v_mul_f32_dpp v100, v26, v100 row_newbcast:8 row_mask:0xf bank_mask:0xf// 00000000AEE8: 0AC8C8FA FF01581A
	v_mul_f32_dpp v101, v26, v101 row_newbcast:9 row_mask:0xf bank_mask:0xf// 00000000AEF0: 0ACACAFA FF01591A
	v_mul_f32_dpp v102, v26, v102 row_newbcast:10 row_mask:0xf bank_mask:0xf// 00000000AEF8: 0ACCCCFA FF015A1A
	v_mul_f32_dpp v103, v26, v103 row_newbcast:11 row_mask:0xf bank_mask:0xf// 00000000AF00: 0ACECEFA FF015B1A
	v_mul_f32_dpp v104, v26, v104 row_newbcast:8 row_mask:0xf bank_mask:0xf// 00000000AF08: 0AD0D0FA FF01581A
	v_mul_f32_dpp v105, v26, v105 row_newbcast:9 row_mask:0xf bank_mask:0xf// 00000000AF10: 0AD2D2FA FF01591A
	v_mul_f32_dpp v106, v26, v106 row_newbcast:10 row_mask:0xf bank_mask:0xf// 00000000AF18: 0AD4D4FA FF015A1A
	v_mul_f32_dpp v107, v26, v107 row_newbcast:11 row_mask:0xf bank_mask:0xf// 00000000AF20: 0AD6D6FA FF015B1A
	v_mul_f32_dpp v108, v26, v108 row_newbcast:12 row_mask:0xf bank_mask:0xf// 00000000AF28: 0AD8D8FA FF015C1A
	v_mul_f32_dpp v109, v26, v109 row_newbcast:13 row_mask:0xf bank_mask:0xf// 00000000AF30: 0ADADAFA FF015D1A
	v_mul_f32_dpp v110, v26, v110 row_newbcast:14 row_mask:0xf bank_mask:0xf// 00000000AF38: 0ADCDCFA FF015E1A
	v_mul_f32_dpp v111, v26, v111 row_newbcast:15 row_mask:0xf bank_mask:0xf// 00000000AF40: 0ADEDEFA FF015F1A
	v_mul_f32_dpp v112, v26, v112 row_newbcast:12 row_mask:0xf bank_mask:0xf// 00000000AF48: 0AE0E0FA FF015C1A
	v_mul_f32_dpp v113, v26, v113 row_newbcast:13 row_mask:0xf bank_mask:0xf// 00000000AF50: 0AE2E2FA FF015D1A
	v_mul_f32_dpp v114, v26, v114 row_newbcast:14 row_mask:0xf bank_mask:0xf// 00000000AF58: 0AE4E4FA FF015E1A
	v_mul_f32_dpp v115, v26, v115 row_newbcast:15 row_mask:0xf bank_mask:0xf// 00000000AF60: 0AE6E6FA FF015F1A
	v_mul_f32_dpp v116, v28, v116 row_newbcast:0 row_mask:0xf bank_mask:0xf// 00000000AF68: 0AE8E8FA FF01501C
	v_mul_f32_dpp v117, v28, v117 row_newbcast:1 row_mask:0xf bank_mask:0xf// 00000000AF70: 0AEAEAFA FF01511C
	v_mul_f32_dpp v118, v28, v118 row_newbcast:2 row_mask:0xf bank_mask:0xf// 00000000AF78: 0AECECFA FF01521C
	v_mul_f32_dpp v119, v28, v119 row_newbcast:3 row_mask:0xf bank_mask:0xf// 00000000AF80: 0AEEEEFA FF01531C
	v_mul_f32_dpp v120, v28, v120 row_newbcast:0 row_mask:0xf bank_mask:0xf// 00000000AF88: 0AF0F0FA FF01501C
	v_mul_f32_dpp v121, v28, v121 row_newbcast:1 row_mask:0xf bank_mask:0xf// 00000000AF90: 0AF2F2FA FF01511C
	v_mul_f32_dpp v122, v28, v122 row_newbcast:2 row_mask:0xf bank_mask:0xf// 00000000AF98: 0AF4F4FA FF01521C
	v_mul_f32_dpp v123, v28, v123 row_newbcast:3 row_mask:0xf bank_mask:0xf// 00000000AFA0: 0AF6F6FA FF01531C
	v_mul_f32_dpp v124, v28, v124 row_newbcast:4 row_mask:0xf bank_mask:0xf// 00000000AFA8: 0AF8F8FA FF01541C
	v_mul_f32_dpp v125, v28, v125 row_newbcast:5 row_mask:0xf bank_mask:0xf// 00000000AFB0: 0AFAFAFA FF01551C
	v_mul_f32_dpp v126, v28, v126 row_newbcast:6 row_mask:0xf bank_mask:0xf// 00000000AFB8: 0AFCFCFA FF01561C
	v_mul_f32_dpp v127, v28, v127 row_newbcast:7 row_mask:0xf bank_mask:0xf// 00000000AFC0: 0AFEFEFA FF01571C
	v_mul_f32_dpp v128, v28, v128 row_newbcast:4 row_mask:0xf bank_mask:0xf// 00000000AFC8: 0B0100FA FF01541C
	v_mul_f32_dpp v129, v28, v129 row_newbcast:5 row_mask:0xf bank_mask:0xf// 00000000AFD0: 0B0302FA FF01551C
	v_mul_f32_dpp v130, v28, v130 row_newbcast:6 row_mask:0xf bank_mask:0xf// 00000000AFD8: 0B0504FA FF01561C
	v_mul_f32_dpp v131, v28, v131 row_newbcast:7 row_mask:0xf bank_mask:0xf// 00000000AFE0: 0B0706FA FF01571C
	v_mul_f32_dpp v132, v28, v132 row_newbcast:8 row_mask:0xf bank_mask:0xf// 00000000AFE8: 0B0908FA FF01581C
	v_mul_f32_dpp v133, v28, v133 row_newbcast:9 row_mask:0xf bank_mask:0xf// 00000000AFF0: 0B0B0AFA FF01591C
	v_mul_f32_dpp v134, v28, v134 row_newbcast:10 row_mask:0xf bank_mask:0xf// 00000000AFF8: 0B0D0CFA FF015A1C
	v_mul_f32_dpp v135, v28, v135 row_newbcast:11 row_mask:0xf bank_mask:0xf// 00000000B000: 0B0F0EFA FF015B1C
	v_mul_f32_dpp v136, v28, v136 row_newbcast:8 row_mask:0xf bank_mask:0xf// 00000000B008: 0B1110FA FF01581C
	v_mul_f32_dpp v137, v28, v137 row_newbcast:9 row_mask:0xf bank_mask:0xf// 00000000B010: 0B1312FA FF01591C
	v_mul_f32_dpp v138, v28, v138 row_newbcast:10 row_mask:0xf bank_mask:0xf// 00000000B018: 0B1514FA FF015A1C
	v_mul_f32_dpp v139, v28, v139 row_newbcast:11 row_mask:0xf bank_mask:0xf// 00000000B020: 0B1716FA FF015B1C
	v_mul_f32_dpp v140, v28, v140 row_newbcast:12 row_mask:0xf bank_mask:0xf// 00000000B028: 0B1918FA FF015C1C
	v_mul_f32_dpp v141, v28, v141 row_newbcast:13 row_mask:0xf bank_mask:0xf// 00000000B030: 0B1B1AFA FF015D1C
	v_mul_f32_dpp v142, v28, v142 row_newbcast:14 row_mask:0xf bank_mask:0xf// 00000000B038: 0B1D1CFA FF015E1C
	v_mul_f32_dpp v143, v28, v143 row_newbcast:15 row_mask:0xf bank_mask:0xf// 00000000B040: 0B1F1EFA FF015F1C
	v_mul_f32_dpp v144, v28, v144 row_newbcast:12 row_mask:0xf bank_mask:0xf// 00000000B048: 0B2120FA FF015C1C
	v_mul_f32_dpp v145, v28, v145 row_newbcast:13 row_mask:0xf bank_mask:0xf// 00000000B050: 0B2322FA FF015D1C
	v_mul_f32_dpp v146, v28, v146 row_newbcast:14 row_mask:0xf bank_mask:0xf// 00000000B058: 0B2524FA FF015E1C
	v_mul_f32_dpp v147, v28, v147 row_newbcast:15 row_mask:0xf bank_mask:0xf// 00000000B060: 0B2726FA FF015F1C
	v_mul_f32_dpp v148, v29, v148 row_newbcast:0 row_mask:0xf bank_mask:0xf// 00000000B068: 0B2928FA FF01501D
	v_mul_f32_dpp v149, v29, v149 row_newbcast:1 row_mask:0xf bank_mask:0xf// 00000000B070: 0B2B2AFA FF01511D
	v_mul_f32_dpp v150, v29, v150 row_newbcast:2 row_mask:0xf bank_mask:0xf// 00000000B078: 0B2D2CFA FF01521D
	v_mul_f32_dpp v151, v29, v151 row_newbcast:3 row_mask:0xf bank_mask:0xf// 00000000B080: 0B2F2EFA FF01531D
	v_mul_f32_dpp v152, v29, v152 row_newbcast:0 row_mask:0xf bank_mask:0xf// 00000000B088: 0B3130FA FF01501D
	v_mul_f32_dpp v153, v29, v153 row_newbcast:1 row_mask:0xf bank_mask:0xf// 00000000B090: 0B3332FA FF01511D
	v_mul_f32_dpp v154, v29, v154 row_newbcast:2 row_mask:0xf bank_mask:0xf// 00000000B098: 0B3534FA FF01521D
	v_mul_f32_dpp v155, v29, v155 row_newbcast:3 row_mask:0xf bank_mask:0xf// 00000000B0A0: 0B3736FA FF01531D
	v_mul_f32_dpp v156, v29, v156 row_newbcast:4 row_mask:0xf bank_mask:0xf// 00000000B0A8: 0B3938FA FF01541D
	v_mul_f32_dpp v157, v29, v157 row_newbcast:5 row_mask:0xf bank_mask:0xf// 00000000B0B0: 0B3B3AFA FF01551D
	v_mul_f32_dpp v158, v29, v158 row_newbcast:6 row_mask:0xf bank_mask:0xf// 00000000B0B8: 0B3D3CFA FF01561D
	v_mul_f32_dpp v159, v29, v159 row_newbcast:7 row_mask:0xf bank_mask:0xf// 00000000B0C0: 0B3F3EFA FF01571D
	v_mul_f32_dpp v160, v29, v160 row_newbcast:4 row_mask:0xf bank_mask:0xf// 00000000B0C8: 0B4140FA FF01541D
	v_mul_f32_dpp v161, v29, v161 row_newbcast:5 row_mask:0xf bank_mask:0xf// 00000000B0D0: 0B4342FA FF01551D
	v_mul_f32_dpp v162, v29, v162 row_newbcast:6 row_mask:0xf bank_mask:0xf// 00000000B0D8: 0B4544FA FF01561D
	v_mul_f32_dpp v163, v29, v163 row_newbcast:7 row_mask:0xf bank_mask:0xf// 00000000B0E0: 0B4746FA FF01571D
	v_mul_f32_dpp v164, v29, v164 row_newbcast:8 row_mask:0xf bank_mask:0xf// 00000000B0E8: 0B4948FA FF01581D
	v_mul_f32_dpp v165, v29, v165 row_newbcast:9 row_mask:0xf bank_mask:0xf// 00000000B0F0: 0B4B4AFA FF01591D
	v_mul_f32_dpp v166, v29, v166 row_newbcast:10 row_mask:0xf bank_mask:0xf// 00000000B0F8: 0B4D4CFA FF015A1D
	v_mul_f32_dpp v167, v29, v167 row_newbcast:11 row_mask:0xf bank_mask:0xf// 00000000B100: 0B4F4EFA FF015B1D
	v_mul_f32_dpp v168, v29, v168 row_newbcast:8 row_mask:0xf bank_mask:0xf// 00000000B108: 0B5150FA FF01581D
	v_mul_f32_dpp v169, v29, v169 row_newbcast:9 row_mask:0xf bank_mask:0xf// 00000000B110: 0B5352FA FF01591D
	v_mul_f32_dpp v170, v29, v170 row_newbcast:10 row_mask:0xf bank_mask:0xf// 00000000B118: 0B5554FA FF015A1D
	v_mul_f32_dpp v171, v29, v171 row_newbcast:11 row_mask:0xf bank_mask:0xf// 00000000B120: 0B5756FA FF015B1D
	v_mul_f32_dpp v172, v29, v172 row_newbcast:12 row_mask:0xf bank_mask:0xf// 00000000B128: 0B5958FA FF015C1D
	v_mul_f32_dpp v173, v29, v173 row_newbcast:13 row_mask:0xf bank_mask:0xf// 00000000B130: 0B5B5AFA FF015D1D
	v_mul_f32_dpp v174, v29, v174 row_newbcast:14 row_mask:0xf bank_mask:0xf// 00000000B138: 0B5D5CFA FF015E1D
	v_mul_f32_dpp v175, v29, v175 row_newbcast:15 row_mask:0xf bank_mask:0xf// 00000000B140: 0B5F5EFA FF015F1D
	v_mul_f32_dpp v176, v29, v176 row_newbcast:12 row_mask:0xf bank_mask:0xf// 00000000B148: 0B6160FA FF015C1D
	v_mul_f32_dpp v177, v29, v177 row_newbcast:13 row_mask:0xf bank_mask:0xf// 00000000B150: 0B6362FA FF015D1D
	v_mul_f32_dpp v178, v29, v178 row_newbcast:14 row_mask:0xf bank_mask:0xf// 00000000B158: 0B6564FA FF015E1D
	v_mul_f32_dpp v179, v29, v179 row_newbcast:15 row_mask:0xf bank_mask:0xf// 00000000B160: 0B6766FA FF015F1D
	v_mul_f32_e32 v33, v33, v180                               // 00000000B168: 0A436921
	v_mov_b32_e32 v4, v33                                      // 00000000B16C: 7E080321
	v_mov_b32_e32 v5, v4                                       // 00000000B170: 7E0A0304
	v_pk_mul_f32 v[52:53], v[4:5], v[52:53]                    // 00000000B174: D3B14034 18026904
	v_pk_mul_f32 v[116:117], v[4:5], v[116:117]                // 00000000B17C: D3B14074 1802E904
	v_pk_mul_f32 v[54:55], v[4:5], v[54:55]                    // 00000000B184: D3B14036 18026D04
	v_pk_mul_f32 v[118:119], v[4:5], v[118:119]                // 00000000B18C: D3B14076 1802ED04
	v_pk_mul_f32 v[60:61], v[4:5], v[60:61]                    // 00000000B194: D3B1403C 18027904
	v_pk_mul_f32 v[124:125], v[4:5], v[124:125]                // 00000000B19C: D3B1407C 1802F904
	v_pk_mul_f32 v[62:63], v[4:5], v[62:63]                    // 00000000B1A4: D3B1403E 18027D04
	v_pk_mul_f32 v[126:127], v[4:5], v[126:127]                // 00000000B1AC: D3B1407E 1802FD04
	v_pk_mul_f32 v[68:69], v[4:5], v[68:69]                    // 00000000B1B4: D3B14044 18028904
	v_pk_mul_f32 v[132:133], v[4:5], v[132:133]                // 00000000B1BC: D3B14084 18030904
	v_pk_mul_f32 v[70:71], v[4:5], v[70:71]                    // 00000000B1C4: D3B14046 18028D04
	v_pk_mul_f32 v[134:135], v[4:5], v[134:135]                // 00000000B1CC: D3B14086 18030D04
	v_pk_mul_f32 v[76:77], v[4:5], v[76:77]                    // 00000000B1D4: D3B1404C 18029904
	v_pk_mul_f32 v[140:141], v[4:5], v[140:141]                // 00000000B1DC: D3B1408C 18031904
	v_pk_mul_f32 v[78:79], v[4:5], v[78:79]                    // 00000000B1E4: D3B1404E 18029D04
	v_pk_mul_f32 v[142:143], v[4:5], v[142:143]                // 00000000B1EC: D3B1408E 18031D04
	v_pk_mul_f32 v[84:85], v[4:5], v[84:85]                    // 00000000B1F4: D3B14054 1802A904
	v_pk_mul_f32 v[148:149], v[4:5], v[148:149]                // 00000000B1FC: D3B14094 18032904
	v_pk_mul_f32 v[86:87], v[4:5], v[86:87]                    // 00000000B204: D3B14056 1802AD04
	v_pk_mul_f32 v[150:151], v[4:5], v[150:151]                // 00000000B20C: D3B14096 18032D04
	v_pk_mul_f32 v[92:93], v[4:5], v[92:93]                    // 00000000B214: D3B1405C 1802B904
	v_pk_mul_f32 v[156:157], v[4:5], v[156:157]                // 00000000B21C: D3B1409C 18033904
	v_pk_mul_f32 v[94:95], v[4:5], v[94:95]                    // 00000000B224: D3B1405E 1802BD04
	v_pk_mul_f32 v[158:159], v[4:5], v[158:159]                // 00000000B22C: D3B1409E 18033D04
	v_pk_mul_f32 v[100:101], v[4:5], v[100:101]                // 00000000B234: D3B14064 1802C904
	v_pk_mul_f32 v[164:165], v[4:5], v[164:165]                // 00000000B23C: D3B140A4 18034904
	v_pk_mul_f32 v[102:103], v[4:5], v[102:103]                // 00000000B244: D3B14066 1802CD04
	v_pk_mul_f32 v[166:167], v[4:5], v[166:167]                // 00000000B24C: D3B140A6 18034D04
	v_pk_mul_f32 v[108:109], v[4:5], v[108:109]                // 00000000B254: D3B1406C 1802D904
	v_pk_mul_f32 v[172:173], v[4:5], v[172:173]                // 00000000B25C: D3B140AC 18035904
	v_pk_mul_f32 v[110:111], v[4:5], v[110:111]                // 00000000B264: D3B1406E 1802DD04
	v_pk_mul_f32 v[174:175], v[4:5], v[174:175]                // 00000000B26C: D3B140AE 18035D04
	v_mul_f32_e32 v34, v34, v181                               // 00000000B274: 0A456B22
	v_mov_b32_e32 v4, v34                                      // 00000000B278: 7E080322
	v_mov_b32_e32 v5, v4                                       // 00000000B27C: 7E0A0304
	v_pk_mul_f32 v[56:57], v[4:5], v[56:57]                    // 00000000B280: D3B14038 18027104
	v_pk_mul_f32 v[120:121], v[4:5], v[120:121]                // 00000000B288: D3B14078 1802F104
	v_pk_mul_f32 v[58:59], v[4:5], v[58:59]                    // 00000000B290: D3B1403A 18027504
	v_pk_mul_f32 v[122:123], v[4:5], v[122:123]                // 00000000B298: D3B1407A 1802F504
	v_pk_mul_f32 v[64:65], v[4:5], v[64:65]                    // 00000000B2A0: D3B14040 18028104
	v_pk_mul_f32 v[128:129], v[4:5], v[128:129]                // 00000000B2A8: D3B14080 18030104
	v_pk_mul_f32 v[66:67], v[4:5], v[66:67]                    // 00000000B2B0: D3B14042 18028504
	v_pk_mul_f32 v[130:131], v[4:5], v[130:131]                // 00000000B2B8: D3B14082 18030504
	v_pk_mul_f32 v[72:73], v[4:5], v[72:73]                    // 00000000B2C0: D3B14048 18029104
	v_pk_mul_f32 v[136:137], v[4:5], v[136:137]                // 00000000B2C8: D3B14088 18031104
	v_pk_mul_f32 v[74:75], v[4:5], v[74:75]                    // 00000000B2D0: D3B1404A 18029504
	v_pk_mul_f32 v[138:139], v[4:5], v[138:139]                // 00000000B2D8: D3B1408A 18031504
	v_pk_mul_f32 v[80:81], v[4:5], v[80:81]                    // 00000000B2E0: D3B14050 1802A104
	v_pk_mul_f32 v[144:145], v[4:5], v[144:145]                // 00000000B2E8: D3B14090 18032104
	v_pk_mul_f32 v[82:83], v[4:5], v[82:83]                    // 00000000B2F0: D3B14052 1802A504
	v_pk_mul_f32 v[146:147], v[4:5], v[146:147]                // 00000000B2F8: D3B14092 18032504
	v_pk_mul_f32 v[88:89], v[4:5], v[88:89]                    // 00000000B300: D3B14058 1802B104
	v_pk_mul_f32 v[152:153], v[4:5], v[152:153]                // 00000000B308: D3B14098 18033104
	v_pk_mul_f32 v[90:91], v[4:5], v[90:91]                    // 00000000B310: D3B1405A 1802B504
	v_pk_mul_f32 v[154:155], v[4:5], v[154:155]                // 00000000B318: D3B1409A 18033504
	v_pk_mul_f32 v[96:97], v[4:5], v[96:97]                    // 00000000B320: D3B14060 1802C104
	v_pk_mul_f32 v[160:161], v[4:5], v[160:161]                // 00000000B328: D3B140A0 18034104
	v_pk_mul_f32 v[98:99], v[4:5], v[98:99]                    // 00000000B330: D3B14062 1802C504
	v_pk_mul_f32 v[162:163], v[4:5], v[162:163]                // 00000000B338: D3B140A2 18034504
	v_pk_mul_f32 v[104:105], v[4:5], v[104:105]                // 00000000B340: D3B14068 1802D104
	v_pk_mul_f32 v[168:169], v[4:5], v[168:169]                // 00000000B348: D3B140A8 18035104
	v_pk_mul_f32 v[106:107], v[4:5], v[106:107]                // 00000000B350: D3B1406A 1802D504
	v_pk_mul_f32 v[170:171], v[4:5], v[170:171]                // 00000000B358: D3B140AA 18035504
	v_pk_mul_f32 v[112:113], v[4:5], v[112:113]                // 00000000B360: D3B14070 1802E104
	v_pk_mul_f32 v[176:177], v[4:5], v[176:177]                // 00000000B368: D3B140B0 18036104
	v_pk_mul_f32 v[114:115], v[4:5], v[114:115]                // 00000000B370: D3B14072 1802E504
	v_pk_mul_f32 v[178:179], v[4:5], v[178:179]                // 00000000B378: D3B140B2 18036504
	s_cmp_eq_u32 s88, 0                                        // 00000000B380: BF068058
	s_cbranch_scc0 label_29FE                                  // 00000000B384: BF840799
	s_cmp_eq_u32 s89, 0                                        // 00000000B388: BF068059
	s_cbranch_scc1 label_24EC                                  // 00000000B38C: BF850285
	v_mov_b32_e32 v8, v1                                       // 00000000B390: 7E100301
	v_mov_b32_e32 v9, v1                                       // 00000000B394: 7E120301
	s_mov_b32 s60, s6                                          // 00000000B398: BEBC0006
	s_mov_b32 s61, s6                                          // 00000000B39C: BEBD0006
	v_pk_mul_f32 v[4:5], v[52:53], v[52:53]                    // 00000000B3A0: D3B14004 18026934
	v_pk_mul_f32 v[6:7], v[54:55], v[54:55]                    // 00000000B3A8: D3B14006 18026D36
	v_pk_fma_f32 v[4:5], v[4:5], s[78:79], v[8:9]              // 00000000B3B0: D3B04004 1C209D04
	v_pk_fma_f32 v[6:7], v[6:7], s[78:79], v[8:9]              // 00000000B3B8: D3B04006 1C209D06
	v_pk_mul_f32 v[4:5], v[4:5], v[52:53]                      // 00000000B3C0: D3B14004 18026904
	v_pk_mul_f32 v[6:7], v[6:7], v[54:55]                      // 00000000B3C8: D3B14006 18026D06
	v_pk_mul_f32 v[4:5], v[4:5], s[60:61]                      // 00000000B3D0: D3B14004 18007904
	v_pk_mul_f32 v[6:7], v[6:7], s[60:61]                      // 00000000B3D8: D3B14006 18007906
	v_exp_f32_e32 v4, v4                                       // 00000000B3E0: 7E084104
	v_exp_f32_e32 v5, v5                                       // 00000000B3E4: 7E0A4105
	v_exp_f32_e32 v6, v6                                       // 00000000B3E8: 7E0C4106
	v_exp_f32_e32 v7, v7                                       // 00000000B3EC: 7E0E4107
	v_add_f32_e64 v4, v4, 1.0                                  // 00000000B3F0: D1010004 0001E504
	v_add_f32_e64 v5, v5, 1.0                                  // 00000000B3F8: D1010005 0001E505
	v_add_f32_e64 v6, v6, 1.0                                  // 00000000B400: D1010006 0001E506
	v_add_f32_e64 v7, v7, 1.0                                  // 00000000B408: D1010007 0001E507
	v_rcp_f32_e32 v4, v4                                       // 00000000B410: 7E084504
	v_rcp_f32_e32 v5, v5                                       // 00000000B414: 7E0A4505
	v_rcp_f32_e32 v6, v6                                       // 00000000B418: 7E0C4506
	v_rcp_f32_e32 v7, v7                                       // 00000000B41C: 7E0E4507
	v_mul_f32_e32 v52, v52, v4                                 // 00000000B420: 0A680934
	v_mul_f32_e32 v53, v53, v5                                 // 00000000B424: 0A6A0B35
	v_mul_f32_e32 v54, v54, v6                                 // 00000000B428: 0A6C0D36
	v_mul_f32_e32 v55, v55, v7                                 // 00000000B42C: 0A6E0F37
	v_mul_f32_e32 v52, v52, v116                               // 00000000B430: 0A68E934
	v_mul_f32_e32 v53, v53, v117                               // 00000000B434: 0A6AEB35
	v_mul_f32_e32 v54, v54, v118                               // 00000000B438: 0A6CED36
	v_mul_f32_e32 v55, v55, v119                               // 00000000B43C: 0A6EEF37
	v_pk_mul_f32 v[4:5], v[56:57], v[56:57]                    // 00000000B440: D3B14004 18027138
	v_pk_mul_f32 v[6:7], v[58:59], v[58:59]                    // 00000000B448: D3B14006 1802753A
	v_pk_fma_f32 v[4:5], v[4:5], s[78:79], v[8:9]              // 00000000B450: D3B04004 1C209D04
	v_pk_fma_f32 v[6:7], v[6:7], s[78:79], v[8:9]              // 00000000B458: D3B04006 1C209D06
	v_pk_mul_f32 v[4:5], v[4:5], v[56:57]                      // 00000000B460: D3B14004 18027104
	v_pk_mul_f32 v[6:7], v[6:7], v[58:59]                      // 00000000B468: D3B14006 18027506
	v_pk_mul_f32 v[4:5], v[4:5], s[60:61]                      // 00000000B470: D3B14004 18007904
	v_pk_mul_f32 v[6:7], v[6:7], s[60:61]                      // 00000000B478: D3B14006 18007906
	v_exp_f32_e32 v4, v4                                       // 00000000B480: 7E084104
	v_exp_f32_e32 v5, v5                                       // 00000000B484: 7E0A4105
	v_exp_f32_e32 v6, v6                                       // 00000000B488: 7E0C4106
	v_exp_f32_e32 v7, v7                                       // 00000000B48C: 7E0E4107
	v_add_f32_e64 v4, v4, 1.0                                  // 00000000B490: D1010004 0001E504
	v_add_f32_e64 v5, v5, 1.0                                  // 00000000B498: D1010005 0001E505
	v_add_f32_e64 v6, v6, 1.0                                  // 00000000B4A0: D1010006 0001E506
	v_add_f32_e64 v7, v7, 1.0                                  // 00000000B4A8: D1010007 0001E507
	v_rcp_f32_e32 v4, v4                                       // 00000000B4B0: 7E084504
	v_rcp_f32_e32 v5, v5                                       // 00000000B4B4: 7E0A4505
	v_rcp_f32_e32 v6, v6                                       // 00000000B4B8: 7E0C4506
	v_rcp_f32_e32 v7, v7                                       // 00000000B4BC: 7E0E4507
	v_mul_f32_e32 v56, v56, v4                                 // 00000000B4C0: 0A700938
	v_mul_f32_e32 v57, v57, v5                                 // 00000000B4C4: 0A720B39
	v_mul_f32_e32 v58, v58, v6                                 // 00000000B4C8: 0A740D3A
	v_mul_f32_e32 v59, v59, v7                                 // 00000000B4CC: 0A760F3B
	v_mul_f32_e32 v56, v56, v120                               // 00000000B4D0: 0A70F138
	v_mul_f32_e32 v57, v57, v121                               // 00000000B4D4: 0A72F339
	v_mul_f32_e32 v58, v58, v122                               // 00000000B4D8: 0A74F53A
	v_mul_f32_e32 v59, v59, v123                               // 00000000B4DC: 0A76F73B
	v_pk_mul_f32 v[4:5], v[60:61], v[60:61]                    // 00000000B4E0: D3B14004 1802793C
	v_pk_mul_f32 v[6:7], v[62:63], v[62:63]                    // 00000000B4E8: D3B14006 18027D3E
	v_pk_fma_f32 v[4:5], v[4:5], s[78:79], v[8:9]              // 00000000B4F0: D3B04004 1C209D04
	v_pk_fma_f32 v[6:7], v[6:7], s[78:79], v[8:9]              // 00000000B4F8: D3B04006 1C209D06
	v_pk_mul_f32 v[4:5], v[4:5], v[60:61]                      // 00000000B500: D3B14004 18027904
	v_pk_mul_f32 v[6:7], v[6:7], v[62:63]                      // 00000000B508: D3B14006 18027D06
	v_pk_mul_f32 v[4:5], v[4:5], s[60:61]                      // 00000000B510: D3B14004 18007904
	v_pk_mul_f32 v[6:7], v[6:7], s[60:61]                      // 00000000B518: D3B14006 18007906
	v_exp_f32_e32 v4, v4                                       // 00000000B520: 7E084104
	v_exp_f32_e32 v5, v5                                       // 00000000B524: 7E0A4105
	v_exp_f32_e32 v6, v6                                       // 00000000B528: 7E0C4106
	v_exp_f32_e32 v7, v7                                       // 00000000B52C: 7E0E4107
	v_add_f32_e64 v4, v4, 1.0                                  // 00000000B530: D1010004 0001E504
	v_add_f32_e64 v5, v5, 1.0                                  // 00000000B538: D1010005 0001E505
	v_add_f32_e64 v6, v6, 1.0                                  // 00000000B540: D1010006 0001E506
	v_add_f32_e64 v7, v7, 1.0                                  // 00000000B548: D1010007 0001E507
	v_rcp_f32_e32 v4, v4                                       // 00000000B550: 7E084504
	v_rcp_f32_e32 v5, v5                                       // 00000000B554: 7E0A4505
	v_rcp_f32_e32 v6, v6                                       // 00000000B558: 7E0C4506
	v_rcp_f32_e32 v7, v7                                       // 00000000B55C: 7E0E4507
	v_mul_f32_e32 v60, v60, v4                                 // 00000000B560: 0A78093C
	v_mul_f32_e32 v61, v61, v5                                 // 00000000B564: 0A7A0B3D
	v_mul_f32_e32 v62, v62, v6                                 // 00000000B568: 0A7C0D3E
	v_mul_f32_e32 v63, v63, v7                                 // 00000000B56C: 0A7E0F3F
	v_mul_f32_e32 v60, v60, v124                               // 00000000B570: 0A78F93C
	v_mul_f32_e32 v61, v61, v125                               // 00000000B574: 0A7AFB3D
	v_mul_f32_e32 v62, v62, v126                               // 00000000B578: 0A7CFD3E
	v_mul_f32_e32 v63, v63, v127                               // 00000000B57C: 0A7EFF3F
	v_pk_mul_f32 v[4:5], v[64:65], v[64:65]                    // 00000000B580: D3B14004 18028140
	v_pk_mul_f32 v[6:7], v[66:67], v[66:67]                    // 00000000B588: D3B14006 18028542
	v_pk_fma_f32 v[4:5], v[4:5], s[78:79], v[8:9]              // 00000000B590: D3B04004 1C209D04
	v_pk_fma_f32 v[6:7], v[6:7], s[78:79], v[8:9]              // 00000000B598: D3B04006 1C209D06
	v_pk_mul_f32 v[4:5], v[4:5], v[64:65]                      // 00000000B5A0: D3B14004 18028104
	v_pk_mul_f32 v[6:7], v[6:7], v[66:67]                      // 00000000B5A8: D3B14006 18028506
	v_pk_mul_f32 v[4:5], v[4:5], s[60:61]                      // 00000000B5B0: D3B14004 18007904
	v_pk_mul_f32 v[6:7], v[6:7], s[60:61]                      // 00000000B5B8: D3B14006 18007906
	v_exp_f32_e32 v4, v4                                       // 00000000B5C0: 7E084104
	v_exp_f32_e32 v5, v5                                       // 00000000B5C4: 7E0A4105
	v_exp_f32_e32 v6, v6                                       // 00000000B5C8: 7E0C4106
	v_exp_f32_e32 v7, v7                                       // 00000000B5CC: 7E0E4107
	v_add_f32_e64 v4, v4, 1.0                                  // 00000000B5D0: D1010004 0001E504
	v_add_f32_e64 v5, v5, 1.0                                  // 00000000B5D8: D1010005 0001E505
	v_add_f32_e64 v6, v6, 1.0                                  // 00000000B5E0: D1010006 0001E506
	v_add_f32_e64 v7, v7, 1.0                                  // 00000000B5E8: D1010007 0001E507
	v_rcp_f32_e32 v4, v4                                       // 00000000B5F0: 7E084504
	v_rcp_f32_e32 v5, v5                                       // 00000000B5F4: 7E0A4505
	v_rcp_f32_e32 v6, v6                                       // 00000000B5F8: 7E0C4506
	v_rcp_f32_e32 v7, v7                                       // 00000000B5FC: 7E0E4507
	v_mul_f32_e32 v64, v64, v4                                 // 00000000B600: 0A800940
	v_mul_f32_e32 v65, v65, v5                                 // 00000000B604: 0A820B41
	v_mul_f32_e32 v66, v66, v6                                 // 00000000B608: 0A840D42
	v_mul_f32_e32 v67, v67, v7                                 // 00000000B60C: 0A860F43
	v_mul_f32_e32 v64, v64, v128                               // 00000000B610: 0A810140
	v_mul_f32_e32 v65, v65, v129                               // 00000000B614: 0A830341
	v_mul_f32_e32 v66, v66, v130                               // 00000000B618: 0A850542
	v_mul_f32_e32 v67, v67, v131                               // 00000000B61C: 0A870743
	v_pk_mul_f32 v[4:5], v[68:69], v[68:69]                    // 00000000B620: D3B14004 18028944
	v_pk_mul_f32 v[6:7], v[70:71], v[70:71]                    // 00000000B628: D3B14006 18028D46
	v_pk_fma_f32 v[4:5], v[4:5], s[78:79], v[8:9]              // 00000000B630: D3B04004 1C209D04
	v_pk_fma_f32 v[6:7], v[6:7], s[78:79], v[8:9]              // 00000000B638: D3B04006 1C209D06
	v_pk_mul_f32 v[4:5], v[4:5], v[68:69]                      // 00000000B640: D3B14004 18028904
	v_pk_mul_f32 v[6:7], v[6:7], v[70:71]                      // 00000000B648: D3B14006 18028D06
	v_pk_mul_f32 v[4:5], v[4:5], s[60:61]                      // 00000000B650: D3B14004 18007904
	v_pk_mul_f32 v[6:7], v[6:7], s[60:61]                      // 00000000B658: D3B14006 18007906
	v_exp_f32_e32 v4, v4                                       // 00000000B660: 7E084104
	v_exp_f32_e32 v5, v5                                       // 00000000B664: 7E0A4105
	v_exp_f32_e32 v6, v6                                       // 00000000B668: 7E0C4106
	v_exp_f32_e32 v7, v7                                       // 00000000B66C: 7E0E4107
	v_add_f32_e64 v4, v4, 1.0                                  // 00000000B670: D1010004 0001E504
	v_add_f32_e64 v5, v5, 1.0                                  // 00000000B678: D1010005 0001E505
	v_add_f32_e64 v6, v6, 1.0                                  // 00000000B680: D1010006 0001E506
	v_add_f32_e64 v7, v7, 1.0                                  // 00000000B688: D1010007 0001E507
	v_rcp_f32_e32 v4, v4                                       // 00000000B690: 7E084504
	v_rcp_f32_e32 v5, v5                                       // 00000000B694: 7E0A4505
	v_rcp_f32_e32 v6, v6                                       // 00000000B698: 7E0C4506
	v_rcp_f32_e32 v7, v7                                       // 00000000B69C: 7E0E4507
	v_mul_f32_e32 v68, v68, v4                                 // 00000000B6A0: 0A880944
	v_mul_f32_e32 v69, v69, v5                                 // 00000000B6A4: 0A8A0B45
	v_mul_f32_e32 v70, v70, v6                                 // 00000000B6A8: 0A8C0D46
	v_mul_f32_e32 v71, v71, v7                                 // 00000000B6AC: 0A8E0F47
	v_mul_f32_e32 v68, v68, v132                               // 00000000B6B0: 0A890944
	v_mul_f32_e32 v69, v69, v133                               // 00000000B6B4: 0A8B0B45
	v_mul_f32_e32 v70, v70, v134                               // 00000000B6B8: 0A8D0D46
	v_mul_f32_e32 v71, v71, v135                               // 00000000B6BC: 0A8F0F47
	v_pk_mul_f32 v[4:5], v[72:73], v[72:73]                    // 00000000B6C0: D3B14004 18029148
	v_pk_mul_f32 v[6:7], v[74:75], v[74:75]                    // 00000000B6C8: D3B14006 1802954A
	v_pk_fma_f32 v[4:5], v[4:5], s[78:79], v[8:9]              // 00000000B6D0: D3B04004 1C209D04
	v_pk_fma_f32 v[6:7], v[6:7], s[78:79], v[8:9]              // 00000000B6D8: D3B04006 1C209D06
	v_pk_mul_f32 v[4:5], v[4:5], v[72:73]                      // 00000000B6E0: D3B14004 18029104
	v_pk_mul_f32 v[6:7], v[6:7], v[74:75]                      // 00000000B6E8: D3B14006 18029506
	v_pk_mul_f32 v[4:5], v[4:5], s[60:61]                      // 00000000B6F0: D3B14004 18007904
	v_pk_mul_f32 v[6:7], v[6:7], s[60:61]                      // 00000000B6F8: D3B14006 18007906
	v_exp_f32_e32 v4, v4                                       // 00000000B700: 7E084104
	v_exp_f32_e32 v5, v5                                       // 00000000B704: 7E0A4105
	v_exp_f32_e32 v6, v6                                       // 00000000B708: 7E0C4106
	v_exp_f32_e32 v7, v7                                       // 00000000B70C: 7E0E4107
	v_add_f32_e64 v4, v4, 1.0                                  // 00000000B710: D1010004 0001E504
	v_add_f32_e64 v5, v5, 1.0                                  // 00000000B718: D1010005 0001E505
	v_add_f32_e64 v6, v6, 1.0                                  // 00000000B720: D1010006 0001E506
	v_add_f32_e64 v7, v7, 1.0                                  // 00000000B728: D1010007 0001E507
	v_rcp_f32_e32 v4, v4                                       // 00000000B730: 7E084504
	v_rcp_f32_e32 v5, v5                                       // 00000000B734: 7E0A4505
	v_rcp_f32_e32 v6, v6                                       // 00000000B738: 7E0C4506
	v_rcp_f32_e32 v7, v7                                       // 00000000B73C: 7E0E4507
	v_mul_f32_e32 v72, v72, v4                                 // 00000000B740: 0A900948
	v_mul_f32_e32 v73, v73, v5                                 // 00000000B744: 0A920B49
	v_mul_f32_e32 v74, v74, v6                                 // 00000000B748: 0A940D4A
	v_mul_f32_e32 v75, v75, v7                                 // 00000000B74C: 0A960F4B
	v_mul_f32_e32 v72, v72, v136                               // 00000000B750: 0A911148
	v_mul_f32_e32 v73, v73, v137                               // 00000000B754: 0A931349
	v_mul_f32_e32 v74, v74, v138                               // 00000000B758: 0A95154A
	v_mul_f32_e32 v75, v75, v139                               // 00000000B75C: 0A97174B
	v_pk_mul_f32 v[4:5], v[76:77], v[76:77]                    // 00000000B760: D3B14004 1802994C
	v_pk_mul_f32 v[6:7], v[78:79], v[78:79]                    // 00000000B768: D3B14006 18029D4E
	v_pk_fma_f32 v[4:5], v[4:5], s[78:79], v[8:9]              // 00000000B770: D3B04004 1C209D04
	v_pk_fma_f32 v[6:7], v[6:7], s[78:79], v[8:9]              // 00000000B778: D3B04006 1C209D06
	v_pk_mul_f32 v[4:5], v[4:5], v[76:77]                      // 00000000B780: D3B14004 18029904
	v_pk_mul_f32 v[6:7], v[6:7], v[78:79]                      // 00000000B788: D3B14006 18029D06
	v_pk_mul_f32 v[4:5], v[4:5], s[60:61]                      // 00000000B790: D3B14004 18007904
	v_pk_mul_f32 v[6:7], v[6:7], s[60:61]                      // 00000000B798: D3B14006 18007906
	v_exp_f32_e32 v4, v4                                       // 00000000B7A0: 7E084104
	v_exp_f32_e32 v5, v5                                       // 00000000B7A4: 7E0A4105
	v_exp_f32_e32 v6, v6                                       // 00000000B7A8: 7E0C4106
	v_exp_f32_e32 v7, v7                                       // 00000000B7AC: 7E0E4107
	v_add_f32_e64 v4, v4, 1.0                                  // 00000000B7B0: D1010004 0001E504
	v_add_f32_e64 v5, v5, 1.0                                  // 00000000B7B8: D1010005 0001E505
	v_add_f32_e64 v6, v6, 1.0                                  // 00000000B7C0: D1010006 0001E506
	v_add_f32_e64 v7, v7, 1.0                                  // 00000000B7C8: D1010007 0001E507
	v_rcp_f32_e32 v4, v4                                       // 00000000B7D0: 7E084504
	v_rcp_f32_e32 v5, v5                                       // 00000000B7D4: 7E0A4505
	v_rcp_f32_e32 v6, v6                                       // 00000000B7D8: 7E0C4506
	v_rcp_f32_e32 v7, v7                                       // 00000000B7DC: 7E0E4507
	v_mul_f32_e32 v76, v76, v4                                 // 00000000B7E0: 0A98094C
	v_mul_f32_e32 v77, v77, v5                                 // 00000000B7E4: 0A9A0B4D
	v_mul_f32_e32 v78, v78, v6                                 // 00000000B7E8: 0A9C0D4E
	v_mul_f32_e32 v79, v79, v7                                 // 00000000B7EC: 0A9E0F4F
	v_mul_f32_e32 v76, v76, v140                               // 00000000B7F0: 0A99194C
	v_mul_f32_e32 v77, v77, v141                               // 00000000B7F4: 0A9B1B4D
	v_mul_f32_e32 v78, v78, v142                               // 00000000B7F8: 0A9D1D4E
	v_mul_f32_e32 v79, v79, v143                               // 00000000B7FC: 0A9F1F4F
	v_pk_mul_f32 v[4:5], v[80:81], v[80:81]                    // 00000000B800: D3B14004 1802A150
	v_pk_mul_f32 v[6:7], v[82:83], v[82:83]                    // 00000000B808: D3B14006 1802A552
	v_pk_fma_f32 v[4:5], v[4:5], s[78:79], v[8:9]              // 00000000B810: D3B04004 1C209D04
	v_pk_fma_f32 v[6:7], v[6:7], s[78:79], v[8:9]              // 00000000B818: D3B04006 1C209D06
	v_pk_mul_f32 v[4:5], v[4:5], v[80:81]                      // 00000000B820: D3B14004 1802A104
	v_pk_mul_f32 v[6:7], v[6:7], v[82:83]                      // 00000000B828: D3B14006 1802A506
	v_pk_mul_f32 v[4:5], v[4:5], s[60:61]                      // 00000000B830: D3B14004 18007904
	v_pk_mul_f32 v[6:7], v[6:7], s[60:61]                      // 00000000B838: D3B14006 18007906
	v_exp_f32_e32 v4, v4                                       // 00000000B840: 7E084104
	v_exp_f32_e32 v5, v5                                       // 00000000B844: 7E0A4105
	v_exp_f32_e32 v6, v6                                       // 00000000B848: 7E0C4106
	v_exp_f32_e32 v7, v7                                       // 00000000B84C: 7E0E4107
	v_add_f32_e64 v4, v4, 1.0                                  // 00000000B850: D1010004 0001E504
	v_add_f32_e64 v5, v5, 1.0                                  // 00000000B858: D1010005 0001E505
	v_add_f32_e64 v6, v6, 1.0                                  // 00000000B860: D1010006 0001E506
	v_add_f32_e64 v7, v7, 1.0                                  // 00000000B868: D1010007 0001E507
	v_rcp_f32_e32 v4, v4                                       // 00000000B870: 7E084504
	v_rcp_f32_e32 v5, v5                                       // 00000000B874: 7E0A4505
	v_rcp_f32_e32 v6, v6                                       // 00000000B878: 7E0C4506
	v_rcp_f32_e32 v7, v7                                       // 00000000B87C: 7E0E4507
	v_mul_f32_e32 v80, v80, v4                                 // 00000000B880: 0AA00950
	v_mul_f32_e32 v81, v81, v5                                 // 00000000B884: 0AA20B51
	v_mul_f32_e32 v82, v82, v6                                 // 00000000B888: 0AA40D52
	v_mul_f32_e32 v83, v83, v7                                 // 00000000B88C: 0AA60F53
	v_mul_f32_e32 v80, v80, v144                               // 00000000B890: 0AA12150
	v_mul_f32_e32 v81, v81, v145                               // 00000000B894: 0AA32351
	v_mul_f32_e32 v82, v82, v146                               // 00000000B898: 0AA52552
	v_mul_f32_e32 v83, v83, v147                               // 00000000B89C: 0AA72753
	v_pk_mul_f32 v[4:5], v[84:85], v[84:85]                    // 00000000B8A0: D3B14004 1802A954
	v_pk_mul_f32 v[6:7], v[86:87], v[86:87]                    // 00000000B8A8: D3B14006 1802AD56
	v_pk_fma_f32 v[4:5], v[4:5], s[78:79], v[8:9]              // 00000000B8B0: D3B04004 1C209D04
	v_pk_fma_f32 v[6:7], v[6:7], s[78:79], v[8:9]              // 00000000B8B8: D3B04006 1C209D06
	v_pk_mul_f32 v[4:5], v[4:5], v[84:85]                      // 00000000B8C0: D3B14004 1802A904
	v_pk_mul_f32 v[6:7], v[6:7], v[86:87]                      // 00000000B8C8: D3B14006 1802AD06
	v_pk_mul_f32 v[4:5], v[4:5], s[60:61]                      // 00000000B8D0: D3B14004 18007904
	v_pk_mul_f32 v[6:7], v[6:7], s[60:61]                      // 00000000B8D8: D3B14006 18007906
	v_exp_f32_e32 v4, v4                                       // 00000000B8E0: 7E084104
	v_exp_f32_e32 v5, v5                                       // 00000000B8E4: 7E0A4105
	v_exp_f32_e32 v6, v6                                       // 00000000B8E8: 7E0C4106
	v_exp_f32_e32 v7, v7                                       // 00000000B8EC: 7E0E4107
	v_add_f32_e64 v4, v4, 1.0                                  // 00000000B8F0: D1010004 0001E504
	v_add_f32_e64 v5, v5, 1.0                                  // 00000000B8F8: D1010005 0001E505
	v_add_f32_e64 v6, v6, 1.0                                  // 00000000B900: D1010006 0001E506
	v_add_f32_e64 v7, v7, 1.0                                  // 00000000B908: D1010007 0001E507
	v_rcp_f32_e32 v4, v4                                       // 00000000B910: 7E084504
	v_rcp_f32_e32 v5, v5                                       // 00000000B914: 7E0A4505
	v_rcp_f32_e32 v6, v6                                       // 00000000B918: 7E0C4506
	v_rcp_f32_e32 v7, v7                                       // 00000000B91C: 7E0E4507
	v_mul_f32_e32 v84, v84, v4                                 // 00000000B920: 0AA80954
	v_mul_f32_e32 v85, v85, v5                                 // 00000000B924: 0AAA0B55
	v_mul_f32_e32 v86, v86, v6                                 // 00000000B928: 0AAC0D56
	v_mul_f32_e32 v87, v87, v7                                 // 00000000B92C: 0AAE0F57
	v_mul_f32_e32 v84, v84, v148                               // 00000000B930: 0AA92954
	v_mul_f32_e32 v85, v85, v149                               // 00000000B934: 0AAB2B55
	v_mul_f32_e32 v86, v86, v150                               // 00000000B938: 0AAD2D56
	v_mul_f32_e32 v87, v87, v151                               // 00000000B93C: 0AAF2F57
	v_pk_mul_f32 v[4:5], v[88:89], v[88:89]                    // 00000000B940: D3B14004 1802B158
	v_pk_mul_f32 v[6:7], v[90:91], v[90:91]                    // 00000000B948: D3B14006 1802B55A
	v_pk_fma_f32 v[4:5], v[4:5], s[78:79], v[8:9]              // 00000000B950: D3B04004 1C209D04
	v_pk_fma_f32 v[6:7], v[6:7], s[78:79], v[8:9]              // 00000000B958: D3B04006 1C209D06
	v_pk_mul_f32 v[4:5], v[4:5], v[88:89]                      // 00000000B960: D3B14004 1802B104
	v_pk_mul_f32 v[6:7], v[6:7], v[90:91]                      // 00000000B968: D3B14006 1802B506
	v_pk_mul_f32 v[4:5], v[4:5], s[60:61]                      // 00000000B970: D3B14004 18007904
	v_pk_mul_f32 v[6:7], v[6:7], s[60:61]                      // 00000000B978: D3B14006 18007906
	v_exp_f32_e32 v4, v4                                       // 00000000B980: 7E084104
	v_exp_f32_e32 v5, v5                                       // 00000000B984: 7E0A4105
	v_exp_f32_e32 v6, v6                                       // 00000000B988: 7E0C4106
	v_exp_f32_e32 v7, v7                                       // 00000000B98C: 7E0E4107
	v_add_f32_e64 v4, v4, 1.0                                  // 00000000B990: D1010004 0001E504
	v_add_f32_e64 v5, v5, 1.0                                  // 00000000B998: D1010005 0001E505
	v_add_f32_e64 v6, v6, 1.0                                  // 00000000B9A0: D1010006 0001E506
	v_add_f32_e64 v7, v7, 1.0                                  // 00000000B9A8: D1010007 0001E507
	v_rcp_f32_e32 v4, v4                                       // 00000000B9B0: 7E084504
	v_rcp_f32_e32 v5, v5                                       // 00000000B9B4: 7E0A4505
	v_rcp_f32_e32 v6, v6                                       // 00000000B9B8: 7E0C4506
	v_rcp_f32_e32 v7, v7                                       // 00000000B9BC: 7E0E4507
	v_mul_f32_e32 v88, v88, v4                                 // 00000000B9C0: 0AB00958
	v_mul_f32_e32 v89, v89, v5                                 // 00000000B9C4: 0AB20B59
	v_mul_f32_e32 v90, v90, v6                                 // 00000000B9C8: 0AB40D5A
	v_mul_f32_e32 v91, v91, v7                                 // 00000000B9CC: 0AB60F5B
	v_mul_f32_e32 v88, v88, v152                               // 00000000B9D0: 0AB13158
	v_mul_f32_e32 v89, v89, v153                               // 00000000B9D4: 0AB33359
	v_mul_f32_e32 v90, v90, v154                               // 00000000B9D8: 0AB5355A
	v_mul_f32_e32 v91, v91, v155                               // 00000000B9DC: 0AB7375B
	v_pk_mul_f32 v[4:5], v[92:93], v[92:93]                    // 00000000B9E0: D3B14004 1802B95C
	v_pk_mul_f32 v[6:7], v[94:95], v[94:95]                    // 00000000B9E8: D3B14006 1802BD5E
	v_pk_fma_f32 v[4:5], v[4:5], s[78:79], v[8:9]              // 00000000B9F0: D3B04004 1C209D04
	v_pk_fma_f32 v[6:7], v[6:7], s[78:79], v[8:9]              // 00000000B9F8: D3B04006 1C209D06
	v_pk_mul_f32 v[4:5], v[4:5], v[92:93]                      // 00000000BA00: D3B14004 1802B904
	v_pk_mul_f32 v[6:7], v[6:7], v[94:95]                      // 00000000BA08: D3B14006 1802BD06
	v_pk_mul_f32 v[4:5], v[4:5], s[60:61]                      // 00000000BA10: D3B14004 18007904
	v_pk_mul_f32 v[6:7], v[6:7], s[60:61]                      // 00000000BA18: D3B14006 18007906
	v_exp_f32_e32 v4, v4                                       // 00000000BA20: 7E084104
	v_exp_f32_e32 v5, v5                                       // 00000000BA24: 7E0A4105
	v_exp_f32_e32 v6, v6                                       // 00000000BA28: 7E0C4106
	v_exp_f32_e32 v7, v7                                       // 00000000BA2C: 7E0E4107
	v_add_f32_e64 v4, v4, 1.0                                  // 00000000BA30: D1010004 0001E504
	v_add_f32_e64 v5, v5, 1.0                                  // 00000000BA38: D1010005 0001E505
	v_add_f32_e64 v6, v6, 1.0                                  // 00000000BA40: D1010006 0001E506
	v_add_f32_e64 v7, v7, 1.0                                  // 00000000BA48: D1010007 0001E507
	v_rcp_f32_e32 v4, v4                                       // 00000000BA50: 7E084504
	v_rcp_f32_e32 v5, v5                                       // 00000000BA54: 7E0A4505
	v_rcp_f32_e32 v6, v6                                       // 00000000BA58: 7E0C4506
	v_rcp_f32_e32 v7, v7                                       // 00000000BA5C: 7E0E4507
	v_mul_f32_e32 v92, v92, v4                                 // 00000000BA60: 0AB8095C
	v_mul_f32_e32 v93, v93, v5                                 // 00000000BA64: 0ABA0B5D
	v_mul_f32_e32 v94, v94, v6                                 // 00000000BA68: 0ABC0D5E
	v_mul_f32_e32 v95, v95, v7                                 // 00000000BA6C: 0ABE0F5F
	v_mul_f32_e32 v92, v92, v156                               // 00000000BA70: 0AB9395C
	v_mul_f32_e32 v93, v93, v157                               // 00000000BA74: 0ABB3B5D
	v_mul_f32_e32 v94, v94, v158                               // 00000000BA78: 0ABD3D5E
	v_mul_f32_e32 v95, v95, v159                               // 00000000BA7C: 0ABF3F5F
	v_pk_mul_f32 v[4:5], v[96:97], v[96:97]                    // 00000000BA80: D3B14004 1802C160
	v_pk_mul_f32 v[6:7], v[98:99], v[98:99]                    // 00000000BA88: D3B14006 1802C562
	v_pk_fma_f32 v[4:5], v[4:5], s[78:79], v[8:9]              // 00000000BA90: D3B04004 1C209D04
	v_pk_fma_f32 v[6:7], v[6:7], s[78:79], v[8:9]              // 00000000BA98: D3B04006 1C209D06
	v_pk_mul_f32 v[4:5], v[4:5], v[96:97]                      // 00000000BAA0: D3B14004 1802C104
	v_pk_mul_f32 v[6:7], v[6:7], v[98:99]                      // 00000000BAA8: D3B14006 1802C506
	v_pk_mul_f32 v[4:5], v[4:5], s[60:61]                      // 00000000BAB0: D3B14004 18007904
	v_pk_mul_f32 v[6:7], v[6:7], s[60:61]                      // 00000000BAB8: D3B14006 18007906
	v_exp_f32_e32 v4, v4                                       // 00000000BAC0: 7E084104
	v_exp_f32_e32 v5, v5                                       // 00000000BAC4: 7E0A4105
	v_exp_f32_e32 v6, v6                                       // 00000000BAC8: 7E0C4106
	v_exp_f32_e32 v7, v7                                       // 00000000BACC: 7E0E4107
	v_add_f32_e64 v4, v4, 1.0                                  // 00000000BAD0: D1010004 0001E504
	v_add_f32_e64 v5, v5, 1.0                                  // 00000000BAD8: D1010005 0001E505
	v_add_f32_e64 v6, v6, 1.0                                  // 00000000BAE0: D1010006 0001E506
	v_add_f32_e64 v7, v7, 1.0                                  // 00000000BAE8: D1010007 0001E507
	v_rcp_f32_e32 v4, v4                                       // 00000000BAF0: 7E084504
	v_rcp_f32_e32 v5, v5                                       // 00000000BAF4: 7E0A4505
	v_rcp_f32_e32 v6, v6                                       // 00000000BAF8: 7E0C4506
	v_rcp_f32_e32 v7, v7                                       // 00000000BAFC: 7E0E4507
	v_mul_f32_e32 v96, v96, v4                                 // 00000000BB00: 0AC00960
	v_mul_f32_e32 v97, v97, v5                                 // 00000000BB04: 0AC20B61
	v_mul_f32_e32 v98, v98, v6                                 // 00000000BB08: 0AC40D62
	v_mul_f32_e32 v99, v99, v7                                 // 00000000BB0C: 0AC60F63
	v_mul_f32_e32 v96, v96, v160                               // 00000000BB10: 0AC14160
	v_mul_f32_e32 v97, v97, v161                               // 00000000BB14: 0AC34361
	v_mul_f32_e32 v98, v98, v162                               // 00000000BB18: 0AC54562
	v_mul_f32_e32 v99, v99, v163                               // 00000000BB1C: 0AC74763
	v_pk_mul_f32 v[4:5], v[100:101], v[100:101]                // 00000000BB20: D3B14004 1802C964
	v_pk_mul_f32 v[6:7], v[102:103], v[102:103]                // 00000000BB28: D3B14006 1802CD66
	v_pk_fma_f32 v[4:5], v[4:5], s[78:79], v[8:9]              // 00000000BB30: D3B04004 1C209D04
	v_pk_fma_f32 v[6:7], v[6:7], s[78:79], v[8:9]              // 00000000BB38: D3B04006 1C209D06
	v_pk_mul_f32 v[4:5], v[4:5], v[100:101]                    // 00000000BB40: D3B14004 1802C904
	v_pk_mul_f32 v[6:7], v[6:7], v[102:103]                    // 00000000BB48: D3B14006 1802CD06
	v_pk_mul_f32 v[4:5], v[4:5], s[60:61]                      // 00000000BB50: D3B14004 18007904
	v_pk_mul_f32 v[6:7], v[6:7], s[60:61]                      // 00000000BB58: D3B14006 18007906
	v_exp_f32_e32 v4, v4                                       // 00000000BB60: 7E084104
	v_exp_f32_e32 v5, v5                                       // 00000000BB64: 7E0A4105
	v_exp_f32_e32 v6, v6                                       // 00000000BB68: 7E0C4106
	v_exp_f32_e32 v7, v7                                       // 00000000BB6C: 7E0E4107
	v_add_f32_e64 v4, v4, 1.0                                  // 00000000BB70: D1010004 0001E504
	v_add_f32_e64 v5, v5, 1.0                                  // 00000000BB78: D1010005 0001E505
	v_add_f32_e64 v6, v6, 1.0                                  // 00000000BB80: D1010006 0001E506
	v_add_f32_e64 v7, v7, 1.0                                  // 00000000BB88: D1010007 0001E507
	v_rcp_f32_e32 v4, v4                                       // 00000000BB90: 7E084504
	v_rcp_f32_e32 v5, v5                                       // 00000000BB94: 7E0A4505
	v_rcp_f32_e32 v6, v6                                       // 00000000BB98: 7E0C4506
	v_rcp_f32_e32 v7, v7                                       // 00000000BB9C: 7E0E4507
	v_mul_f32_e32 v100, v100, v4                               // 00000000BBA0: 0AC80964
	v_mul_f32_e32 v101, v101, v5                               // 00000000BBA4: 0ACA0B65
	v_mul_f32_e32 v102, v102, v6                               // 00000000BBA8: 0ACC0D66
	v_mul_f32_e32 v103, v103, v7                               // 00000000BBAC: 0ACE0F67
	v_mul_f32_e32 v100, v100, v164                             // 00000000BBB0: 0AC94964
	v_mul_f32_e32 v101, v101, v165                             // 00000000BBB4: 0ACB4B65
	v_mul_f32_e32 v102, v102, v166                             // 00000000BBB8: 0ACD4D66
	v_mul_f32_e32 v103, v103, v167                             // 00000000BBBC: 0ACF4F67
	v_pk_mul_f32 v[4:5], v[104:105], v[104:105]                // 00000000BBC0: D3B14004 1802D168
	v_pk_mul_f32 v[6:7], v[106:107], v[106:107]                // 00000000BBC8: D3B14006 1802D56A
	v_pk_fma_f32 v[4:5], v[4:5], s[78:79], v[8:9]              // 00000000BBD0: D3B04004 1C209D04
	v_pk_fma_f32 v[6:7], v[6:7], s[78:79], v[8:9]              // 00000000BBD8: D3B04006 1C209D06
	v_pk_mul_f32 v[4:5], v[4:5], v[104:105]                    // 00000000BBE0: D3B14004 1802D104
	v_pk_mul_f32 v[6:7], v[6:7], v[106:107]                    // 00000000BBE8: D3B14006 1802D506
	v_pk_mul_f32 v[4:5], v[4:5], s[60:61]                      // 00000000BBF0: D3B14004 18007904
	v_pk_mul_f32 v[6:7], v[6:7], s[60:61]                      // 00000000BBF8: D3B14006 18007906
	v_exp_f32_e32 v4, v4                                       // 00000000BC00: 7E084104
	v_exp_f32_e32 v5, v5                                       // 00000000BC04: 7E0A4105
	v_exp_f32_e32 v6, v6                                       // 00000000BC08: 7E0C4106
	v_exp_f32_e32 v7, v7                                       // 00000000BC0C: 7E0E4107
	v_add_f32_e64 v4, v4, 1.0                                  // 00000000BC10: D1010004 0001E504
	v_add_f32_e64 v5, v5, 1.0                                  // 00000000BC18: D1010005 0001E505
	v_add_f32_e64 v6, v6, 1.0                                  // 00000000BC20: D1010006 0001E506
	v_add_f32_e64 v7, v7, 1.0                                  // 00000000BC28: D1010007 0001E507
	v_rcp_f32_e32 v4, v4                                       // 00000000BC30: 7E084504
	v_rcp_f32_e32 v5, v5                                       // 00000000BC34: 7E0A4505
	v_rcp_f32_e32 v6, v6                                       // 00000000BC38: 7E0C4506
	v_rcp_f32_e32 v7, v7                                       // 00000000BC3C: 7E0E4507
	v_mul_f32_e32 v104, v104, v4                               // 00000000BC40: 0AD00968
	v_mul_f32_e32 v105, v105, v5                               // 00000000BC44: 0AD20B69
	v_mul_f32_e32 v106, v106, v6                               // 00000000BC48: 0AD40D6A
	v_mul_f32_e32 v107, v107, v7                               // 00000000BC4C: 0AD60F6B
	v_mul_f32_e32 v104, v104, v168                             // 00000000BC50: 0AD15168
	v_mul_f32_e32 v105, v105, v169                             // 00000000BC54: 0AD35369
	v_mul_f32_e32 v106, v106, v170                             // 00000000BC58: 0AD5556A
	v_mul_f32_e32 v107, v107, v171                             // 00000000BC5C: 0AD7576B
	v_pk_mul_f32 v[4:5], v[108:109], v[108:109]                // 00000000BC60: D3B14004 1802D96C
	v_pk_mul_f32 v[6:7], v[110:111], v[110:111]                // 00000000BC68: D3B14006 1802DD6E
	v_pk_fma_f32 v[4:5], v[4:5], s[78:79], v[8:9]              // 00000000BC70: D3B04004 1C209D04
	v_pk_fma_f32 v[6:7], v[6:7], s[78:79], v[8:9]              // 00000000BC78: D3B04006 1C209D06
	v_pk_mul_f32 v[4:5], v[4:5], v[108:109]                    // 00000000BC80: D3B14004 1802D904
	v_pk_mul_f32 v[6:7], v[6:7], v[110:111]                    // 00000000BC88: D3B14006 1802DD06
	v_pk_mul_f32 v[4:5], v[4:5], s[60:61]                      // 00000000BC90: D3B14004 18007904
	v_pk_mul_f32 v[6:7], v[6:7], s[60:61]                      // 00000000BC98: D3B14006 18007906
	v_exp_f32_e32 v4, v4                                       // 00000000BCA0: 7E084104
	v_exp_f32_e32 v5, v5                                       // 00000000BCA4: 7E0A4105
	v_exp_f32_e32 v6, v6                                       // 00000000BCA8: 7E0C4106
	v_exp_f32_e32 v7, v7                                       // 00000000BCAC: 7E0E4107
	v_add_f32_e64 v4, v4, 1.0                                  // 00000000BCB0: D1010004 0001E504
	v_add_f32_e64 v5, v5, 1.0                                  // 00000000BCB8: D1010005 0001E505
	v_add_f32_e64 v6, v6, 1.0                                  // 00000000BCC0: D1010006 0001E506
	v_add_f32_e64 v7, v7, 1.0                                  // 00000000BCC8: D1010007 0001E507
	v_rcp_f32_e32 v4, v4                                       // 00000000BCD0: 7E084504
	v_rcp_f32_e32 v5, v5                                       // 00000000BCD4: 7E0A4505
	v_rcp_f32_e32 v6, v6                                       // 00000000BCD8: 7E0C4506
	v_rcp_f32_e32 v7, v7                                       // 00000000BCDC: 7E0E4507
	v_mul_f32_e32 v108, v108, v4                               // 00000000BCE0: 0AD8096C
	v_mul_f32_e32 v109, v109, v5                               // 00000000BCE4: 0ADA0B6D
	v_mul_f32_e32 v110, v110, v6                               // 00000000BCE8: 0ADC0D6E
	v_mul_f32_e32 v111, v111, v7                               // 00000000BCEC: 0ADE0F6F
	v_mul_f32_e32 v108, v108, v172                             // 00000000BCF0: 0AD9596C
	v_mul_f32_e32 v109, v109, v173                             // 00000000BCF4: 0ADB5B6D
	v_mul_f32_e32 v110, v110, v174                             // 00000000BCF8: 0ADD5D6E
	v_mul_f32_e32 v111, v111, v175                             // 00000000BCFC: 0ADF5F6F
	v_pk_mul_f32 v[4:5], v[112:113], v[112:113]                // 00000000BD00: D3B14004 1802E170
	v_pk_mul_f32 v[6:7], v[114:115], v[114:115]                // 00000000BD08: D3B14006 1802E572
	v_pk_fma_f32 v[4:5], v[4:5], s[78:79], v[8:9]              // 00000000BD10: D3B04004 1C209D04
	v_pk_fma_f32 v[6:7], v[6:7], s[78:79], v[8:9]              // 00000000BD18: D3B04006 1C209D06
	v_pk_mul_f32 v[4:5], v[4:5], v[112:113]                    // 00000000BD20: D3B14004 1802E104
	v_pk_mul_f32 v[6:7], v[6:7], v[114:115]                    // 00000000BD28: D3B14006 1802E506
	v_pk_mul_f32 v[4:5], v[4:5], s[60:61]                      // 00000000BD30: D3B14004 18007904
	v_pk_mul_f32 v[6:7], v[6:7], s[60:61]                      // 00000000BD38: D3B14006 18007906
	v_exp_f32_e32 v4, v4                                       // 00000000BD40: 7E084104
	v_exp_f32_e32 v5, v5                                       // 00000000BD44: 7E0A4105
	v_exp_f32_e32 v6, v6                                       // 00000000BD48: 7E0C4106
	v_exp_f32_e32 v7, v7                                       // 00000000BD4C: 7E0E4107
	v_add_f32_e64 v4, v4, 1.0                                  // 00000000BD50: D1010004 0001E504
	v_add_f32_e64 v5, v5, 1.0                                  // 00000000BD58: D1010005 0001E505
	v_add_f32_e64 v6, v6, 1.0                                  // 00000000BD60: D1010006 0001E506
	v_add_f32_e64 v7, v7, 1.0                                  // 00000000BD68: D1010007 0001E507
	v_rcp_f32_e32 v4, v4                                       // 00000000BD70: 7E084504
	v_rcp_f32_e32 v5, v5                                       // 00000000BD74: 7E0A4505
	v_rcp_f32_e32 v6, v6                                       // 00000000BD78: 7E0C4506
	v_rcp_f32_e32 v7, v7                                       // 00000000BD7C: 7E0E4507
	v_mul_f32_e32 v112, v112, v4                               // 00000000BD80: 0AE00970
	v_mul_f32_e32 v113, v113, v5                               // 00000000BD84: 0AE20B71
	v_mul_f32_e32 v114, v114, v6                               // 00000000BD88: 0AE40D72
	v_mul_f32_e32 v115, v115, v7                               // 00000000BD8C: 0AE60F73
	v_mul_f32_e32 v112, v112, v176                             // 00000000BD90: 0AE16170
	v_mul_f32_e32 v113, v113, v177                             // 00000000BD94: 0AE36371
	v_mul_f32_e32 v114, v114, v178                             // 00000000BD98: 0AE56572
	v_mul_f32_e32 v115, v115, v179                             // 00000000BD9C: 0AE76773
	s_branch label_26EC                                        // 00000000BDA0: BF820200

000000000000bda4 <label_24EC>:
	v_mul_f32_e64 v4, -v52, s6                                 // 00000000BDA4: D1050004 20000D34
	v_mul_f32_e64 v5, -v53, s6                                 // 00000000BDAC: D1050005 20000D35
	v_mul_f32_e64 v6, -v54, s6                                 // 00000000BDB4: D1050006 20000D36
	v_mul_f32_e64 v7, -v55, s6                                 // 00000000BDBC: D1050007 20000D37
	v_exp_f32_e32 v4, v4                                       // 00000000BDC4: 7E084104
	v_exp_f32_e32 v5, v5                                       // 00000000BDC8: 7E0A4105
	v_exp_f32_e32 v6, v6                                       // 00000000BDCC: 7E0C4106
	v_exp_f32_e32 v7, v7                                       // 00000000BDD0: 7E0E4107
	v_add_f32_e64 v4, v4, 1.0                                  // 00000000BDD4: D1010004 0001E504
	v_add_f32_e64 v5, v5, 1.0                                  // 00000000BDDC: D1010005 0001E505
	v_add_f32_e64 v6, v6, 1.0                                  // 00000000BDE4: D1010006 0001E506
	v_add_f32_e64 v7, v7, 1.0                                  // 00000000BDEC: D1010007 0001E507
	v_rcp_f32_e32 v4, v4                                       // 00000000BDF4: 7E084504
	v_rcp_f32_e32 v5, v5                                       // 00000000BDF8: 7E0A4505
	v_rcp_f32_e32 v6, v6                                       // 00000000BDFC: 7E0C4506
	v_rcp_f32_e32 v7, v7                                       // 00000000BE00: 7E0E4507
	v_mul_f32_e32 v52, v52, v4                                 // 00000000BE04: 0A680934
	v_mul_f32_e32 v53, v53, v5                                 // 00000000BE08: 0A6A0B35
	v_mul_f32_e32 v54, v54, v6                                 // 00000000BE0C: 0A6C0D36
	v_mul_f32_e32 v55, v55, v7                                 // 00000000BE10: 0A6E0F37
	v_mul_f32_e32 v52, v52, v116                               // 00000000BE14: 0A68E934
	v_mul_f32_e32 v53, v53, v117                               // 00000000BE18: 0A6AEB35
	v_mul_f32_e32 v54, v54, v118                               // 00000000BE1C: 0A6CED36
	v_mul_f32_e32 v55, v55, v119                               // 00000000BE20: 0A6EEF37
	v_mul_f32_e64 v4, -v56, s6                                 // 00000000BE24: D1050004 20000D38
	v_mul_f32_e64 v5, -v57, s6                                 // 00000000BE2C: D1050005 20000D39
	v_mul_f32_e64 v6, -v58, s6                                 // 00000000BE34: D1050006 20000D3A
	v_mul_f32_e64 v7, -v59, s6                                 // 00000000BE3C: D1050007 20000D3B
	v_exp_f32_e32 v4, v4                                       // 00000000BE44: 7E084104
	v_exp_f32_e32 v5, v5                                       // 00000000BE48: 7E0A4105
	v_exp_f32_e32 v6, v6                                       // 00000000BE4C: 7E0C4106
	v_exp_f32_e32 v7, v7                                       // 00000000BE50: 7E0E4107
	v_add_f32_e64 v4, v4, 1.0                                  // 00000000BE54: D1010004 0001E504
	v_add_f32_e64 v5, v5, 1.0                                  // 00000000BE5C: D1010005 0001E505
	v_add_f32_e64 v6, v6, 1.0                                  // 00000000BE64: D1010006 0001E506
	v_add_f32_e64 v7, v7, 1.0                                  // 00000000BE6C: D1010007 0001E507
	v_rcp_f32_e32 v4, v4                                       // 00000000BE74: 7E084504
	v_rcp_f32_e32 v5, v5                                       // 00000000BE78: 7E0A4505
	v_rcp_f32_e32 v6, v6                                       // 00000000BE7C: 7E0C4506
	v_rcp_f32_e32 v7, v7                                       // 00000000BE80: 7E0E4507
	v_mul_f32_e32 v56, v56, v4                                 // 00000000BE84: 0A700938
	v_mul_f32_e32 v57, v57, v5                                 // 00000000BE88: 0A720B39
	v_mul_f32_e32 v58, v58, v6                                 // 00000000BE8C: 0A740D3A
	v_mul_f32_e32 v59, v59, v7                                 // 00000000BE90: 0A760F3B
	v_mul_f32_e32 v56, v56, v120                               // 00000000BE94: 0A70F138
	v_mul_f32_e32 v57, v57, v121                               // 00000000BE98: 0A72F339
	v_mul_f32_e32 v58, v58, v122                               // 00000000BE9C: 0A74F53A
	v_mul_f32_e32 v59, v59, v123                               // 00000000BEA0: 0A76F73B
	v_mul_f32_e64 v4, -v60, s6                                 // 00000000BEA4: D1050004 20000D3C
	v_mul_f32_e64 v5, -v61, s6                                 // 00000000BEAC: D1050005 20000D3D
	v_mul_f32_e64 v6, -v62, s6                                 // 00000000BEB4: D1050006 20000D3E
	v_mul_f32_e64 v7, -v63, s6                                 // 00000000BEBC: D1050007 20000D3F
	v_exp_f32_e32 v4, v4                                       // 00000000BEC4: 7E084104
	v_exp_f32_e32 v5, v5                                       // 00000000BEC8: 7E0A4105
	v_exp_f32_e32 v6, v6                                       // 00000000BECC: 7E0C4106
	v_exp_f32_e32 v7, v7                                       // 00000000BED0: 7E0E4107
	v_add_f32_e64 v4, v4, 1.0                                  // 00000000BED4: D1010004 0001E504
	v_add_f32_e64 v5, v5, 1.0                                  // 00000000BEDC: D1010005 0001E505
	v_add_f32_e64 v6, v6, 1.0                                  // 00000000BEE4: D1010006 0001E506
	v_add_f32_e64 v7, v7, 1.0                                  // 00000000BEEC: D1010007 0001E507
	v_rcp_f32_e32 v4, v4                                       // 00000000BEF4: 7E084504
	v_rcp_f32_e32 v5, v5                                       // 00000000BEF8: 7E0A4505
	v_rcp_f32_e32 v6, v6                                       // 00000000BEFC: 7E0C4506
	v_rcp_f32_e32 v7, v7                                       // 00000000BF00: 7E0E4507
	v_mul_f32_e32 v60, v60, v4                                 // 00000000BF04: 0A78093C
	v_mul_f32_e32 v61, v61, v5                                 // 00000000BF08: 0A7A0B3D
	v_mul_f32_e32 v62, v62, v6                                 // 00000000BF0C: 0A7C0D3E
	v_mul_f32_e32 v63, v63, v7                                 // 00000000BF10: 0A7E0F3F
	v_mul_f32_e32 v60, v60, v124                               // 00000000BF14: 0A78F93C
	v_mul_f32_e32 v61, v61, v125                               // 00000000BF18: 0A7AFB3D
	v_mul_f32_e32 v62, v62, v126                               // 00000000BF1C: 0A7CFD3E
	v_mul_f32_e32 v63, v63, v127                               // 00000000BF20: 0A7EFF3F
	v_mul_f32_e64 v4, -v64, s6                                 // 00000000BF24: D1050004 20000D40
	v_mul_f32_e64 v5, -v65, s6                                 // 00000000BF2C: D1050005 20000D41
	v_mul_f32_e64 v6, -v66, s6                                 // 00000000BF34: D1050006 20000D42
	v_mul_f32_e64 v7, -v67, s6                                 // 00000000BF3C: D1050007 20000D43
	v_exp_f32_e32 v4, v4                                       // 00000000BF44: 7E084104
	v_exp_f32_e32 v5, v5                                       // 00000000BF48: 7E0A4105
	v_exp_f32_e32 v6, v6                                       // 00000000BF4C: 7E0C4106
	v_exp_f32_e32 v7, v7                                       // 00000000BF50: 7E0E4107
	v_add_f32_e64 v4, v4, 1.0                                  // 00000000BF54: D1010004 0001E504
	v_add_f32_e64 v5, v5, 1.0                                  // 00000000BF5C: D1010005 0001E505
	v_add_f32_e64 v6, v6, 1.0                                  // 00000000BF64: D1010006 0001E506
	v_add_f32_e64 v7, v7, 1.0                                  // 00000000BF6C: D1010007 0001E507
	v_rcp_f32_e32 v4, v4                                       // 00000000BF74: 7E084504
	v_rcp_f32_e32 v5, v5                                       // 00000000BF78: 7E0A4505
	v_rcp_f32_e32 v6, v6                                       // 00000000BF7C: 7E0C4506
	v_rcp_f32_e32 v7, v7                                       // 00000000BF80: 7E0E4507
	v_mul_f32_e32 v64, v64, v4                                 // 00000000BF84: 0A800940
	v_mul_f32_e32 v65, v65, v5                                 // 00000000BF88: 0A820B41
	v_mul_f32_e32 v66, v66, v6                                 // 00000000BF8C: 0A840D42
	v_mul_f32_e32 v67, v67, v7                                 // 00000000BF90: 0A860F43
	v_mul_f32_e32 v64, v64, v128                               // 00000000BF94: 0A810140
	v_mul_f32_e32 v65, v65, v129                               // 00000000BF98: 0A830341
	v_mul_f32_e32 v66, v66, v130                               // 00000000BF9C: 0A850542
	v_mul_f32_e32 v67, v67, v131                               // 00000000BFA0: 0A870743
	v_mul_f32_e64 v4, -v68, s6                                 // 00000000BFA4: D1050004 20000D44
	v_mul_f32_e64 v5, -v69, s6                                 // 00000000BFAC: D1050005 20000D45
	v_mul_f32_e64 v6, -v70, s6                                 // 00000000BFB4: D1050006 20000D46
	v_mul_f32_e64 v7, -v71, s6                                 // 00000000BFBC: D1050007 20000D47
	v_exp_f32_e32 v4, v4                                       // 00000000BFC4: 7E084104
	v_exp_f32_e32 v5, v5                                       // 00000000BFC8: 7E0A4105
	v_exp_f32_e32 v6, v6                                       // 00000000BFCC: 7E0C4106
	v_exp_f32_e32 v7, v7                                       // 00000000BFD0: 7E0E4107
	v_add_f32_e64 v4, v4, 1.0                                  // 00000000BFD4: D1010004 0001E504
	v_add_f32_e64 v5, v5, 1.0                                  // 00000000BFDC: D1010005 0001E505
	v_add_f32_e64 v6, v6, 1.0                                  // 00000000BFE4: D1010006 0001E506
	v_add_f32_e64 v7, v7, 1.0                                  // 00000000BFEC: D1010007 0001E507
	v_rcp_f32_e32 v4, v4                                       // 00000000BFF4: 7E084504
	v_rcp_f32_e32 v5, v5                                       // 00000000BFF8: 7E0A4505
	v_rcp_f32_e32 v6, v6                                       // 00000000BFFC: 7E0C4506
	v_rcp_f32_e32 v7, v7                                       // 00000000C000: 7E0E4507
	v_mul_f32_e32 v68, v68, v4                                 // 00000000C004: 0A880944
	v_mul_f32_e32 v69, v69, v5                                 // 00000000C008: 0A8A0B45
	v_mul_f32_e32 v70, v70, v6                                 // 00000000C00C: 0A8C0D46
	v_mul_f32_e32 v71, v71, v7                                 // 00000000C010: 0A8E0F47
	v_mul_f32_e32 v68, v68, v132                               // 00000000C014: 0A890944
	v_mul_f32_e32 v69, v69, v133                               // 00000000C018: 0A8B0B45
	v_mul_f32_e32 v70, v70, v134                               // 00000000C01C: 0A8D0D46
	v_mul_f32_e32 v71, v71, v135                               // 00000000C020: 0A8F0F47
	v_mul_f32_e64 v4, -v72, s6                                 // 00000000C024: D1050004 20000D48
	v_mul_f32_e64 v5, -v73, s6                                 // 00000000C02C: D1050005 20000D49
	v_mul_f32_e64 v6, -v74, s6                                 // 00000000C034: D1050006 20000D4A
	v_mul_f32_e64 v7, -v75, s6                                 // 00000000C03C: D1050007 20000D4B
	v_exp_f32_e32 v4, v4                                       // 00000000C044: 7E084104
	v_exp_f32_e32 v5, v5                                       // 00000000C048: 7E0A4105
	v_exp_f32_e32 v6, v6                                       // 00000000C04C: 7E0C4106
	v_exp_f32_e32 v7, v7                                       // 00000000C050: 7E0E4107
	v_add_f32_e64 v4, v4, 1.0                                  // 00000000C054: D1010004 0001E504
	v_add_f32_e64 v5, v5, 1.0                                  // 00000000C05C: D1010005 0001E505
	v_add_f32_e64 v6, v6, 1.0                                  // 00000000C064: D1010006 0001E506
	v_add_f32_e64 v7, v7, 1.0                                  // 00000000C06C: D1010007 0001E507
	v_rcp_f32_e32 v4, v4                                       // 00000000C074: 7E084504
	v_rcp_f32_e32 v5, v5                                       // 00000000C078: 7E0A4505
	v_rcp_f32_e32 v6, v6                                       // 00000000C07C: 7E0C4506
	v_rcp_f32_e32 v7, v7                                       // 00000000C080: 7E0E4507
	v_mul_f32_e32 v72, v72, v4                                 // 00000000C084: 0A900948
	v_mul_f32_e32 v73, v73, v5                                 // 00000000C088: 0A920B49
	v_mul_f32_e32 v74, v74, v6                                 // 00000000C08C: 0A940D4A
	v_mul_f32_e32 v75, v75, v7                                 // 00000000C090: 0A960F4B
	v_mul_f32_e32 v72, v72, v136                               // 00000000C094: 0A911148
	v_mul_f32_e32 v73, v73, v137                               // 00000000C098: 0A931349
	v_mul_f32_e32 v74, v74, v138                               // 00000000C09C: 0A95154A
	v_mul_f32_e32 v75, v75, v139                               // 00000000C0A0: 0A97174B
	v_mul_f32_e64 v4, -v76, s6                                 // 00000000C0A4: D1050004 20000D4C
	v_mul_f32_e64 v5, -v77, s6                                 // 00000000C0AC: D1050005 20000D4D
	v_mul_f32_e64 v6, -v78, s6                                 // 00000000C0B4: D1050006 20000D4E
	v_mul_f32_e64 v7, -v79, s6                                 // 00000000C0BC: D1050007 20000D4F
	v_exp_f32_e32 v4, v4                                       // 00000000C0C4: 7E084104
	v_exp_f32_e32 v5, v5                                       // 00000000C0C8: 7E0A4105
	v_exp_f32_e32 v6, v6                                       // 00000000C0CC: 7E0C4106
	v_exp_f32_e32 v7, v7                                       // 00000000C0D0: 7E0E4107
	v_add_f32_e64 v4, v4, 1.0                                  // 00000000C0D4: D1010004 0001E504
	v_add_f32_e64 v5, v5, 1.0                                  // 00000000C0DC: D1010005 0001E505
	v_add_f32_e64 v6, v6, 1.0                                  // 00000000C0E4: D1010006 0001E506
	v_add_f32_e64 v7, v7, 1.0                                  // 00000000C0EC: D1010007 0001E507
	v_rcp_f32_e32 v4, v4                                       // 00000000C0F4: 7E084504
	v_rcp_f32_e32 v5, v5                                       // 00000000C0F8: 7E0A4505
	v_rcp_f32_e32 v6, v6                                       // 00000000C0FC: 7E0C4506
	v_rcp_f32_e32 v7, v7                                       // 00000000C100: 7E0E4507
	v_mul_f32_e32 v76, v76, v4                                 // 00000000C104: 0A98094C
	v_mul_f32_e32 v77, v77, v5                                 // 00000000C108: 0A9A0B4D
	v_mul_f32_e32 v78, v78, v6                                 // 00000000C10C: 0A9C0D4E
	v_mul_f32_e32 v79, v79, v7                                 // 00000000C110: 0A9E0F4F
	v_mul_f32_e32 v76, v76, v140                               // 00000000C114: 0A99194C
	v_mul_f32_e32 v77, v77, v141                               // 00000000C118: 0A9B1B4D
	v_mul_f32_e32 v78, v78, v142                               // 00000000C11C: 0A9D1D4E
	v_mul_f32_e32 v79, v79, v143                               // 00000000C120: 0A9F1F4F
	v_mul_f32_e64 v4, -v80, s6                                 // 00000000C124: D1050004 20000D50
	v_mul_f32_e64 v5, -v81, s6                                 // 00000000C12C: D1050005 20000D51
	v_mul_f32_e64 v6, -v82, s6                                 // 00000000C134: D1050006 20000D52
	v_mul_f32_e64 v7, -v83, s6                                 // 00000000C13C: D1050007 20000D53
	v_exp_f32_e32 v4, v4                                       // 00000000C144: 7E084104
	v_exp_f32_e32 v5, v5                                       // 00000000C148: 7E0A4105
	v_exp_f32_e32 v6, v6                                       // 00000000C14C: 7E0C4106
	v_exp_f32_e32 v7, v7                                       // 00000000C150: 7E0E4107
	v_add_f32_e64 v4, v4, 1.0                                  // 00000000C154: D1010004 0001E504
	v_add_f32_e64 v5, v5, 1.0                                  // 00000000C15C: D1010005 0001E505
	v_add_f32_e64 v6, v6, 1.0                                  // 00000000C164: D1010006 0001E506
	v_add_f32_e64 v7, v7, 1.0                                  // 00000000C16C: D1010007 0001E507
	v_rcp_f32_e32 v4, v4                                       // 00000000C174: 7E084504
	v_rcp_f32_e32 v5, v5                                       // 00000000C178: 7E0A4505
	v_rcp_f32_e32 v6, v6                                       // 00000000C17C: 7E0C4506
	v_rcp_f32_e32 v7, v7                                       // 00000000C180: 7E0E4507
	v_mul_f32_e32 v80, v80, v4                                 // 00000000C184: 0AA00950
	v_mul_f32_e32 v81, v81, v5                                 // 00000000C188: 0AA20B51
	v_mul_f32_e32 v82, v82, v6                                 // 00000000C18C: 0AA40D52
	v_mul_f32_e32 v83, v83, v7                                 // 00000000C190: 0AA60F53
	v_mul_f32_e32 v80, v80, v144                               // 00000000C194: 0AA12150
	v_mul_f32_e32 v81, v81, v145                               // 00000000C198: 0AA32351
	v_mul_f32_e32 v82, v82, v146                               // 00000000C19C: 0AA52552
	v_mul_f32_e32 v83, v83, v147                               // 00000000C1A0: 0AA72753
	v_mul_f32_e64 v4, -v84, s6                                 // 00000000C1A4: D1050004 20000D54
	v_mul_f32_e64 v5, -v85, s6                                 // 00000000C1AC: D1050005 20000D55
	v_mul_f32_e64 v6, -v86, s6                                 // 00000000C1B4: D1050006 20000D56
	v_mul_f32_e64 v7, -v87, s6                                 // 00000000C1BC: D1050007 20000D57
	v_exp_f32_e32 v4, v4                                       // 00000000C1C4: 7E084104
	v_exp_f32_e32 v5, v5                                       // 00000000C1C8: 7E0A4105
	v_exp_f32_e32 v6, v6                                       // 00000000C1CC: 7E0C4106
	v_exp_f32_e32 v7, v7                                       // 00000000C1D0: 7E0E4107
	v_add_f32_e64 v4, v4, 1.0                                  // 00000000C1D4: D1010004 0001E504
	v_add_f32_e64 v5, v5, 1.0                                  // 00000000C1DC: D1010005 0001E505
	v_add_f32_e64 v6, v6, 1.0                                  // 00000000C1E4: D1010006 0001E506
	v_add_f32_e64 v7, v7, 1.0                                  // 00000000C1EC: D1010007 0001E507
	v_rcp_f32_e32 v4, v4                                       // 00000000C1F4: 7E084504
	v_rcp_f32_e32 v5, v5                                       // 00000000C1F8: 7E0A4505
	v_rcp_f32_e32 v6, v6                                       // 00000000C1FC: 7E0C4506
	v_rcp_f32_e32 v7, v7                                       // 00000000C200: 7E0E4507
	v_mul_f32_e32 v84, v84, v4                                 // 00000000C204: 0AA80954
	v_mul_f32_e32 v85, v85, v5                                 // 00000000C208: 0AAA0B55
	v_mul_f32_e32 v86, v86, v6                                 // 00000000C20C: 0AAC0D56
	v_mul_f32_e32 v87, v87, v7                                 // 00000000C210: 0AAE0F57
	v_mul_f32_e32 v84, v84, v148                               // 00000000C214: 0AA92954
	v_mul_f32_e32 v85, v85, v149                               // 00000000C218: 0AAB2B55
	v_mul_f32_e32 v86, v86, v150                               // 00000000C21C: 0AAD2D56
	v_mul_f32_e32 v87, v87, v151                               // 00000000C220: 0AAF2F57
	v_mul_f32_e64 v4, -v88, s6                                 // 00000000C224: D1050004 20000D58
	v_mul_f32_e64 v5, -v89, s6                                 // 00000000C22C: D1050005 20000D59
	v_mul_f32_e64 v6, -v90, s6                                 // 00000000C234: D1050006 20000D5A
	v_mul_f32_e64 v7, -v91, s6                                 // 00000000C23C: D1050007 20000D5B
	v_exp_f32_e32 v4, v4                                       // 00000000C244: 7E084104
	v_exp_f32_e32 v5, v5                                       // 00000000C248: 7E0A4105
	v_exp_f32_e32 v6, v6                                       // 00000000C24C: 7E0C4106
	v_exp_f32_e32 v7, v7                                       // 00000000C250: 7E0E4107
	v_add_f32_e64 v4, v4, 1.0                                  // 00000000C254: D1010004 0001E504
	v_add_f32_e64 v5, v5, 1.0                                  // 00000000C25C: D1010005 0001E505
	v_add_f32_e64 v6, v6, 1.0                                  // 00000000C264: D1010006 0001E506
	v_add_f32_e64 v7, v7, 1.0                                  // 00000000C26C: D1010007 0001E507
	v_rcp_f32_e32 v4, v4                                       // 00000000C274: 7E084504
	v_rcp_f32_e32 v5, v5                                       // 00000000C278: 7E0A4505
	v_rcp_f32_e32 v6, v6                                       // 00000000C27C: 7E0C4506
	v_rcp_f32_e32 v7, v7                                       // 00000000C280: 7E0E4507
	v_mul_f32_e32 v88, v88, v4                                 // 00000000C284: 0AB00958
	v_mul_f32_e32 v89, v89, v5                                 // 00000000C288: 0AB20B59
	v_mul_f32_e32 v90, v90, v6                                 // 00000000C28C: 0AB40D5A
	v_mul_f32_e32 v91, v91, v7                                 // 00000000C290: 0AB60F5B
	v_mul_f32_e32 v88, v88, v152                               // 00000000C294: 0AB13158
	v_mul_f32_e32 v89, v89, v153                               // 00000000C298: 0AB33359
	v_mul_f32_e32 v90, v90, v154                               // 00000000C29C: 0AB5355A
	v_mul_f32_e32 v91, v91, v155                               // 00000000C2A0: 0AB7375B
	v_mul_f32_e64 v4, -v92, s6                                 // 00000000C2A4: D1050004 20000D5C
	v_mul_f32_e64 v5, -v93, s6                                 // 00000000C2AC: D1050005 20000D5D
	v_mul_f32_e64 v6, -v94, s6                                 // 00000000C2B4: D1050006 20000D5E
	v_mul_f32_e64 v7, -v95, s6                                 // 00000000C2BC: D1050007 20000D5F
	v_exp_f32_e32 v4, v4                                       // 00000000C2C4: 7E084104
	v_exp_f32_e32 v5, v5                                       // 00000000C2C8: 7E0A4105
	v_exp_f32_e32 v6, v6                                       // 00000000C2CC: 7E0C4106
	v_exp_f32_e32 v7, v7                                       // 00000000C2D0: 7E0E4107
	v_add_f32_e64 v4, v4, 1.0                                  // 00000000C2D4: D1010004 0001E504
	v_add_f32_e64 v5, v5, 1.0                                  // 00000000C2DC: D1010005 0001E505
	v_add_f32_e64 v6, v6, 1.0                                  // 00000000C2E4: D1010006 0001E506
	v_add_f32_e64 v7, v7, 1.0                                  // 00000000C2EC: D1010007 0001E507
	v_rcp_f32_e32 v4, v4                                       // 00000000C2F4: 7E084504
	v_rcp_f32_e32 v5, v5                                       // 00000000C2F8: 7E0A4505
	v_rcp_f32_e32 v6, v6                                       // 00000000C2FC: 7E0C4506
	v_rcp_f32_e32 v7, v7                                       // 00000000C300: 7E0E4507
	v_mul_f32_e32 v92, v92, v4                                 // 00000000C304: 0AB8095C
	v_mul_f32_e32 v93, v93, v5                                 // 00000000C308: 0ABA0B5D
	v_mul_f32_e32 v94, v94, v6                                 // 00000000C30C: 0ABC0D5E
	v_mul_f32_e32 v95, v95, v7                                 // 00000000C310: 0ABE0F5F
	v_mul_f32_e32 v92, v92, v156                               // 00000000C314: 0AB9395C
	v_mul_f32_e32 v93, v93, v157                               // 00000000C318: 0ABB3B5D
	v_mul_f32_e32 v94, v94, v158                               // 00000000C31C: 0ABD3D5E
	v_mul_f32_e32 v95, v95, v159                               // 00000000C320: 0ABF3F5F
	v_mul_f32_e64 v4, -v96, s6                                 // 00000000C324: D1050004 20000D60
	v_mul_f32_e64 v5, -v97, s6                                 // 00000000C32C: D1050005 20000D61
	v_mul_f32_e64 v6, -v98, s6                                 // 00000000C334: D1050006 20000D62
	v_mul_f32_e64 v7, -v99, s6                                 // 00000000C33C: D1050007 20000D63
	v_exp_f32_e32 v4, v4                                       // 00000000C344: 7E084104
	v_exp_f32_e32 v5, v5                                       // 00000000C348: 7E0A4105
	v_exp_f32_e32 v6, v6                                       // 00000000C34C: 7E0C4106
	v_exp_f32_e32 v7, v7                                       // 00000000C350: 7E0E4107
	v_add_f32_e64 v4, v4, 1.0                                  // 00000000C354: D1010004 0001E504
	v_add_f32_e64 v5, v5, 1.0                                  // 00000000C35C: D1010005 0001E505
	v_add_f32_e64 v6, v6, 1.0                                  // 00000000C364: D1010006 0001E506
	v_add_f32_e64 v7, v7, 1.0                                  // 00000000C36C: D1010007 0001E507
	v_rcp_f32_e32 v4, v4                                       // 00000000C374: 7E084504
	v_rcp_f32_e32 v5, v5                                       // 00000000C378: 7E0A4505
	v_rcp_f32_e32 v6, v6                                       // 00000000C37C: 7E0C4506
	v_rcp_f32_e32 v7, v7                                       // 00000000C380: 7E0E4507
	v_mul_f32_e32 v96, v96, v4                                 // 00000000C384: 0AC00960
	v_mul_f32_e32 v97, v97, v5                                 // 00000000C388: 0AC20B61
	v_mul_f32_e32 v98, v98, v6                                 // 00000000C38C: 0AC40D62
	v_mul_f32_e32 v99, v99, v7                                 // 00000000C390: 0AC60F63
	v_mul_f32_e32 v96, v96, v160                               // 00000000C394: 0AC14160
	v_mul_f32_e32 v97, v97, v161                               // 00000000C398: 0AC34361
	v_mul_f32_e32 v98, v98, v162                               // 00000000C39C: 0AC54562
	v_mul_f32_e32 v99, v99, v163                               // 00000000C3A0: 0AC74763
	v_mul_f32_e64 v4, -v100, s6                                // 00000000C3A4: D1050004 20000D64
	v_mul_f32_e64 v5, -v101, s6                                // 00000000C3AC: D1050005 20000D65
	v_mul_f32_e64 v6, -v102, s6                                // 00000000C3B4: D1050006 20000D66
	v_mul_f32_e64 v7, -v103, s6                                // 00000000C3BC: D1050007 20000D67
	v_exp_f32_e32 v4, v4                                       // 00000000C3C4: 7E084104
	v_exp_f32_e32 v5, v5                                       // 00000000C3C8: 7E0A4105
	v_exp_f32_e32 v6, v6                                       // 00000000C3CC: 7E0C4106
	v_exp_f32_e32 v7, v7                                       // 00000000C3D0: 7E0E4107
	v_add_f32_e64 v4, v4, 1.0                                  // 00000000C3D4: D1010004 0001E504
	v_add_f32_e64 v5, v5, 1.0                                  // 00000000C3DC: D1010005 0001E505
	v_add_f32_e64 v6, v6, 1.0                                  // 00000000C3E4: D1010006 0001E506
	v_add_f32_e64 v7, v7, 1.0                                  // 00000000C3EC: D1010007 0001E507
	v_rcp_f32_e32 v4, v4                                       // 00000000C3F4: 7E084504
	v_rcp_f32_e32 v5, v5                                       // 00000000C3F8: 7E0A4505
	v_rcp_f32_e32 v6, v6                                       // 00000000C3FC: 7E0C4506
	v_rcp_f32_e32 v7, v7                                       // 00000000C400: 7E0E4507
	v_mul_f32_e32 v100, v100, v4                               // 00000000C404: 0AC80964
	v_mul_f32_e32 v101, v101, v5                               // 00000000C408: 0ACA0B65
	v_mul_f32_e32 v102, v102, v6                               // 00000000C40C: 0ACC0D66
	v_mul_f32_e32 v103, v103, v7                               // 00000000C410: 0ACE0F67
	v_mul_f32_e32 v100, v100, v164                             // 00000000C414: 0AC94964
	v_mul_f32_e32 v101, v101, v165                             // 00000000C418: 0ACB4B65
	v_mul_f32_e32 v102, v102, v166                             // 00000000C41C: 0ACD4D66
	v_mul_f32_e32 v103, v103, v167                             // 00000000C420: 0ACF4F67
	v_mul_f32_e64 v4, -v104, s6                                // 00000000C424: D1050004 20000D68
	v_mul_f32_e64 v5, -v105, s6                                // 00000000C42C: D1050005 20000D69
	v_mul_f32_e64 v6, -v106, s6                                // 00000000C434: D1050006 20000D6A
	v_mul_f32_e64 v7, -v107, s6                                // 00000000C43C: D1050007 20000D6B
	v_exp_f32_e32 v4, v4                                       // 00000000C444: 7E084104
	v_exp_f32_e32 v5, v5                                       // 00000000C448: 7E0A4105
	v_exp_f32_e32 v6, v6                                       // 00000000C44C: 7E0C4106
	v_exp_f32_e32 v7, v7                                       // 00000000C450: 7E0E4107
	v_add_f32_e64 v4, v4, 1.0                                  // 00000000C454: D1010004 0001E504
	v_add_f32_e64 v5, v5, 1.0                                  // 00000000C45C: D1010005 0001E505
	v_add_f32_e64 v6, v6, 1.0                                  // 00000000C464: D1010006 0001E506
	v_add_f32_e64 v7, v7, 1.0                                  // 00000000C46C: D1010007 0001E507
	v_rcp_f32_e32 v4, v4                                       // 00000000C474: 7E084504
	v_rcp_f32_e32 v5, v5                                       // 00000000C478: 7E0A4505
	v_rcp_f32_e32 v6, v6                                       // 00000000C47C: 7E0C4506
	v_rcp_f32_e32 v7, v7                                       // 00000000C480: 7E0E4507
	v_mul_f32_e32 v104, v104, v4                               // 00000000C484: 0AD00968
	v_mul_f32_e32 v105, v105, v5                               // 00000000C488: 0AD20B69
	v_mul_f32_e32 v106, v106, v6                               // 00000000C48C: 0AD40D6A
	v_mul_f32_e32 v107, v107, v7                               // 00000000C490: 0AD60F6B
	v_mul_f32_e32 v104, v104, v168                             // 00000000C494: 0AD15168
	v_mul_f32_e32 v105, v105, v169                             // 00000000C498: 0AD35369
	v_mul_f32_e32 v106, v106, v170                             // 00000000C49C: 0AD5556A
	v_mul_f32_e32 v107, v107, v171                             // 00000000C4A0: 0AD7576B
	v_mul_f32_e64 v4, -v108, s6                                // 00000000C4A4: D1050004 20000D6C
	v_mul_f32_e64 v5, -v109, s6                                // 00000000C4AC: D1050005 20000D6D
	v_mul_f32_e64 v6, -v110, s6                                // 00000000C4B4: D1050006 20000D6E
	v_mul_f32_e64 v7, -v111, s6                                // 00000000C4BC: D1050007 20000D6F
	v_exp_f32_e32 v4, v4                                       // 00000000C4C4: 7E084104
	v_exp_f32_e32 v5, v5                                       // 00000000C4C8: 7E0A4105
	v_exp_f32_e32 v6, v6                                       // 00000000C4CC: 7E0C4106
	v_exp_f32_e32 v7, v7                                       // 00000000C4D0: 7E0E4107
	v_add_f32_e64 v4, v4, 1.0                                  // 00000000C4D4: D1010004 0001E504
	v_add_f32_e64 v5, v5, 1.0                                  // 00000000C4DC: D1010005 0001E505
	v_add_f32_e64 v6, v6, 1.0                                  // 00000000C4E4: D1010006 0001E506
	v_add_f32_e64 v7, v7, 1.0                                  // 00000000C4EC: D1010007 0001E507
	v_rcp_f32_e32 v4, v4                                       // 00000000C4F4: 7E084504
	v_rcp_f32_e32 v5, v5                                       // 00000000C4F8: 7E0A4505
	v_rcp_f32_e32 v6, v6                                       // 00000000C4FC: 7E0C4506
	v_rcp_f32_e32 v7, v7                                       // 00000000C500: 7E0E4507
	v_mul_f32_e32 v108, v108, v4                               // 00000000C504: 0AD8096C
	v_mul_f32_e32 v109, v109, v5                               // 00000000C508: 0ADA0B6D
	v_mul_f32_e32 v110, v110, v6                               // 00000000C50C: 0ADC0D6E
	v_mul_f32_e32 v111, v111, v7                               // 00000000C510: 0ADE0F6F
	v_mul_f32_e32 v108, v108, v172                             // 00000000C514: 0AD9596C
	v_mul_f32_e32 v109, v109, v173                             // 00000000C518: 0ADB5B6D
	v_mul_f32_e32 v110, v110, v174                             // 00000000C51C: 0ADD5D6E
	v_mul_f32_e32 v111, v111, v175                             // 00000000C520: 0ADF5F6F
	v_mul_f32_e64 v4, -v112, s6                                // 00000000C524: D1050004 20000D70
	v_mul_f32_e64 v5, -v113, s6                                // 00000000C52C: D1050005 20000D71
	v_mul_f32_e64 v6, -v114, s6                                // 00000000C534: D1050006 20000D72
	v_mul_f32_e64 v7, -v115, s6                                // 00000000C53C: D1050007 20000D73
	v_exp_f32_e32 v4, v4                                       // 00000000C544: 7E084104
	v_exp_f32_e32 v5, v5                                       // 00000000C548: 7E0A4105
	v_exp_f32_e32 v6, v6                                       // 00000000C54C: 7E0C4106
	v_exp_f32_e32 v7, v7                                       // 00000000C550: 7E0E4107
	v_add_f32_e64 v4, v4, 1.0                                  // 00000000C554: D1010004 0001E504
	v_add_f32_e64 v5, v5, 1.0                                  // 00000000C55C: D1010005 0001E505
	v_add_f32_e64 v6, v6, 1.0                                  // 00000000C564: D1010006 0001E506
	v_add_f32_e64 v7, v7, 1.0                                  // 00000000C56C: D1010007 0001E507
	v_rcp_f32_e32 v4, v4                                       // 00000000C574: 7E084504
	v_rcp_f32_e32 v5, v5                                       // 00000000C578: 7E0A4505
	v_rcp_f32_e32 v6, v6                                       // 00000000C57C: 7E0C4506
	v_rcp_f32_e32 v7, v7                                       // 00000000C580: 7E0E4507
	v_mul_f32_e32 v112, v112, v4                               // 00000000C584: 0AE00970
	v_mul_f32_e32 v113, v113, v5                               // 00000000C588: 0AE20B71
	v_mul_f32_e32 v114, v114, v6                               // 00000000C58C: 0AE40D72
	v_mul_f32_e32 v115, v115, v7                               // 00000000C590: 0AE60F73
	v_mul_f32_e32 v112, v112, v176                             // 00000000C594: 0AE16170
	v_mul_f32_e32 v113, v113, v177                             // 00000000C598: 0AE36371
	v_mul_f32_e32 v114, v114, v178                             // 00000000C59C: 0AE56572
	v_mul_f32_e32 v115, v115, v179                             // 00000000C5A0: 0AE76773

000000000000c5a4 <label_26EC>:
	v_cmp_u_f32_e64 s[46:47], v52, v52                         // 00000000C5A4: D048002E 00026934
	v_add3_u32 v16, v52, v19, 1                                // 00000000C5AC: D1FF0010 02062734
	v_cndmask_b32_e64 v4, v16, v18, s[46:47]                   // 00000000C5B4: D1000004 00BA2510
	v_cmp_u_f32_e64 s[46:47], v53, v53                         // 00000000C5BC: D048002E 00026B35
	v_add3_u32 v16, v53, v19, 1                                // 00000000C5C4: D1FF0010 02062735
	v_cndmask_b32_e64 v5, v16, v18, s[46:47]                   // 00000000C5CC: D1000005 00BA2510
	v_perm_b32 v52, v5, v4, s52                                // 00000000C5D4: D1ED0034 00D20905
	v_cmp_u_f32_e64 s[46:47], v54, v54                         // 00000000C5DC: D048002E 00026D36
	v_add3_u32 v16, v54, v19, 1                                // 00000000C5E4: D1FF0010 02062736
	v_cndmask_b32_e64 v4, v16, v18, s[46:47]                   // 00000000C5EC: D1000004 00BA2510
	v_cmp_u_f32_e64 s[46:47], v55, v55                         // 00000000C5F4: D048002E 00026F37
	v_add3_u32 v16, v55, v19, 1                                // 00000000C5FC: D1FF0010 02062737
	v_cndmask_b32_e64 v5, v16, v18, s[46:47]                   // 00000000C604: D1000005 00BA2510
	v_perm_b32 v53, v5, v4, s52                                // 00000000C60C: D1ED0035 00D20905
	v_cmp_u_f32_e64 s[46:47], v56, v56                         // 00000000C614: D048002E 00027138
	v_add3_u32 v16, v56, v19, 1                                // 00000000C61C: D1FF0010 02062738
	v_cndmask_b32_e64 v4, v16, v18, s[46:47]                   // 00000000C624: D1000004 00BA2510
	v_cmp_u_f32_e64 s[46:47], v57, v57                         // 00000000C62C: D048002E 00027339
	v_add3_u32 v16, v57, v19, 1                                // 00000000C634: D1FF0010 02062739
	v_cndmask_b32_e64 v5, v16, v18, s[46:47]                   // 00000000C63C: D1000005 00BA2510
	v_perm_b32 v54, v5, v4, s52                                // 00000000C644: D1ED0036 00D20905
	v_cmp_u_f32_e64 s[46:47], v58, v58                         // 00000000C64C: D048002E 0002753A
	v_add3_u32 v16, v58, v19, 1                                // 00000000C654: D1FF0010 0206273A
	v_cndmask_b32_e64 v4, v16, v18, s[46:47]                   // 00000000C65C: D1000004 00BA2510
	v_cmp_u_f32_e64 s[46:47], v59, v59                         // 00000000C664: D048002E 0002773B
	v_add3_u32 v16, v59, v19, 1                                // 00000000C66C: D1FF0010 0206273B
	v_cndmask_b32_e64 v5, v16, v18, s[46:47]                   // 00000000C674: D1000005 00BA2510
	v_perm_b32 v55, v5, v4, s52                                // 00000000C67C: D1ED0037 00D20905
	v_cmp_u_f32_e64 s[46:47], v60, v60                         // 00000000C684: D048002E 0002793C
	v_add3_u32 v16, v60, v19, 1                                // 00000000C68C: D1FF0010 0206273C
	v_cndmask_b32_e64 v4, v16, v18, s[46:47]                   // 00000000C694: D1000004 00BA2510
	v_cmp_u_f32_e64 s[46:47], v61, v61                         // 00000000C69C: D048002E 00027B3D
	v_add3_u32 v16, v61, v19, 1                                // 00000000C6A4: D1FF0010 0206273D
	v_cndmask_b32_e64 v5, v16, v18, s[46:47]                   // 00000000C6AC: D1000005 00BA2510
	v_perm_b32 v56, v5, v4, s52                                // 00000000C6B4: D1ED0038 00D20905
	v_cmp_u_f32_e64 s[46:47], v62, v62                         // 00000000C6BC: D048002E 00027D3E
	v_add3_u32 v16, v62, v19, 1                                // 00000000C6C4: D1FF0010 0206273E
	v_cndmask_b32_e64 v4, v16, v18, s[46:47]                   // 00000000C6CC: D1000004 00BA2510
	v_cmp_u_f32_e64 s[46:47], v63, v63                         // 00000000C6D4: D048002E 00027F3F
	v_add3_u32 v16, v63, v19, 1                                // 00000000C6DC: D1FF0010 0206273F
	v_cndmask_b32_e64 v5, v16, v18, s[46:47]                   // 00000000C6E4: D1000005 00BA2510
	v_perm_b32 v57, v5, v4, s52                                // 00000000C6EC: D1ED0039 00D20905
	v_cmp_u_f32_e64 s[46:47], v64, v64                         // 00000000C6F4: D048002E 00028140
	v_add3_u32 v16, v64, v19, 1                                // 00000000C6FC: D1FF0010 02062740
	v_cndmask_b32_e64 v4, v16, v18, s[46:47]                   // 00000000C704: D1000004 00BA2510
	v_cmp_u_f32_e64 s[46:47], v65, v65                         // 00000000C70C: D048002E 00028341
	v_add3_u32 v16, v65, v19, 1                                // 00000000C714: D1FF0010 02062741
	v_cndmask_b32_e64 v5, v16, v18, s[46:47]                   // 00000000C71C: D1000005 00BA2510
	v_perm_b32 v58, v5, v4, s52                                // 00000000C724: D1ED003A 00D20905
	v_cmp_u_f32_e64 s[46:47], v66, v66                         // 00000000C72C: D048002E 00028542
	v_add3_u32 v16, v66, v19, 1                                // 00000000C734: D1FF0010 02062742
	v_cndmask_b32_e64 v4, v16, v18, s[46:47]                   // 00000000C73C: D1000004 00BA2510
	v_cmp_u_f32_e64 s[46:47], v67, v67                         // 00000000C744: D048002E 00028743
	v_add3_u32 v16, v67, v19, 1                                // 00000000C74C: D1FF0010 02062743
	v_cndmask_b32_e64 v5, v16, v18, s[46:47]                   // 00000000C754: D1000005 00BA2510
	v_perm_b32 v59, v5, v4, s52                                // 00000000C75C: D1ED003B 00D20905
	v_cmp_u_f32_e64 s[46:47], v68, v68                         // 00000000C764: D048002E 00028944
	v_add3_u32 v16, v68, v19, 1                                // 00000000C76C: D1FF0010 02062744
	v_cndmask_b32_e64 v4, v16, v18, s[46:47]                   // 00000000C774: D1000004 00BA2510
	v_cmp_u_f32_e64 s[46:47], v69, v69                         // 00000000C77C: D048002E 00028B45
	v_add3_u32 v16, v69, v19, 1                                // 00000000C784: D1FF0010 02062745
	v_cndmask_b32_e64 v5, v16, v18, s[46:47]                   // 00000000C78C: D1000005 00BA2510
	v_perm_b32 v60, v5, v4, s52                                // 00000000C794: D1ED003C 00D20905
	v_cmp_u_f32_e64 s[46:47], v70, v70                         // 00000000C79C: D048002E 00028D46
	v_add3_u32 v16, v70, v19, 1                                // 00000000C7A4: D1FF0010 02062746
	v_cndmask_b32_e64 v4, v16, v18, s[46:47]                   // 00000000C7AC: D1000004 00BA2510
	v_cmp_u_f32_e64 s[46:47], v71, v71                         // 00000000C7B4: D048002E 00028F47
	v_add3_u32 v16, v71, v19, 1                                // 00000000C7BC: D1FF0010 02062747
	v_cndmask_b32_e64 v5, v16, v18, s[46:47]                   // 00000000C7C4: D1000005 00BA2510
	v_perm_b32 v61, v5, v4, s52                                // 00000000C7CC: D1ED003D 00D20905
	v_cmp_u_f32_e64 s[46:47], v72, v72                         // 00000000C7D4: D048002E 00029148
	v_add3_u32 v16, v72, v19, 1                                // 00000000C7DC: D1FF0010 02062748
	v_cndmask_b32_e64 v4, v16, v18, s[46:47]                   // 00000000C7E4: D1000004 00BA2510
	v_cmp_u_f32_e64 s[46:47], v73, v73                         // 00000000C7EC: D048002E 00029349
	v_add3_u32 v16, v73, v19, 1                                // 00000000C7F4: D1FF0010 02062749
	v_cndmask_b32_e64 v5, v16, v18, s[46:47]                   // 00000000C7FC: D1000005 00BA2510
	v_perm_b32 v62, v5, v4, s52                                // 00000000C804: D1ED003E 00D20905
	v_cmp_u_f32_e64 s[46:47], v74, v74                         // 00000000C80C: D048002E 0002954A
	v_add3_u32 v16, v74, v19, 1                                // 00000000C814: D1FF0010 0206274A
	v_cndmask_b32_e64 v4, v16, v18, s[46:47]                   // 00000000C81C: D1000004 00BA2510
	v_cmp_u_f32_e64 s[46:47], v75, v75                         // 00000000C824: D048002E 0002974B
	v_add3_u32 v16, v75, v19, 1                                // 00000000C82C: D1FF0010 0206274B
	v_cndmask_b32_e64 v5, v16, v18, s[46:47]                   // 00000000C834: D1000005 00BA2510
	v_perm_b32 v63, v5, v4, s52                                // 00000000C83C: D1ED003F 00D20905
	v_cmp_u_f32_e64 s[46:47], v76, v76                         // 00000000C844: D048002E 0002994C
	v_add3_u32 v16, v76, v19, 1                                // 00000000C84C: D1FF0010 0206274C
	v_cndmask_b32_e64 v4, v16, v18, s[46:47]                   // 00000000C854: D1000004 00BA2510
	v_cmp_u_f32_e64 s[46:47], v77, v77                         // 00000000C85C: D048002E 00029B4D
	v_add3_u32 v16, v77, v19, 1                                // 00000000C864: D1FF0010 0206274D
	v_cndmask_b32_e64 v5, v16, v18, s[46:47]                   // 00000000C86C: D1000005 00BA2510
	v_perm_b32 v64, v5, v4, s52                                // 00000000C874: D1ED0040 00D20905
	v_cmp_u_f32_e64 s[46:47], v78, v78                         // 00000000C87C: D048002E 00029D4E
	v_add3_u32 v16, v78, v19, 1                                // 00000000C884: D1FF0010 0206274E
	v_cndmask_b32_e64 v4, v16, v18, s[46:47]                   // 00000000C88C: D1000004 00BA2510
	v_cmp_u_f32_e64 s[46:47], v79, v79                         // 00000000C894: D048002E 00029F4F
	v_add3_u32 v16, v79, v19, 1                                // 00000000C89C: D1FF0010 0206274F
	v_cndmask_b32_e64 v5, v16, v18, s[46:47]                   // 00000000C8A4: D1000005 00BA2510
	v_perm_b32 v65, v5, v4, s52                                // 00000000C8AC: D1ED0041 00D20905
	v_cmp_u_f32_e64 s[46:47], v80, v80                         // 00000000C8B4: D048002E 0002A150
	v_add3_u32 v16, v80, v19, 1                                // 00000000C8BC: D1FF0010 02062750
	v_cndmask_b32_e64 v4, v16, v18, s[46:47]                   // 00000000C8C4: D1000004 00BA2510
	v_cmp_u_f32_e64 s[46:47], v81, v81                         // 00000000C8CC: D048002E 0002A351
	v_add3_u32 v16, v81, v19, 1                                // 00000000C8D4: D1FF0010 02062751
	v_cndmask_b32_e64 v5, v16, v18, s[46:47]                   // 00000000C8DC: D1000005 00BA2510
	v_perm_b32 v66, v5, v4, s52                                // 00000000C8E4: D1ED0042 00D20905
	v_cmp_u_f32_e64 s[46:47], v82, v82                         // 00000000C8EC: D048002E 0002A552
	v_add3_u32 v16, v82, v19, 1                                // 00000000C8F4: D1FF0010 02062752
	v_cndmask_b32_e64 v4, v16, v18, s[46:47]                   // 00000000C8FC: D1000004 00BA2510
	v_cmp_u_f32_e64 s[46:47], v83, v83                         // 00000000C904: D048002E 0002A753
	v_add3_u32 v16, v83, v19, 1                                // 00000000C90C: D1FF0010 02062753
	v_cndmask_b32_e64 v5, v16, v18, s[46:47]                   // 00000000C914: D1000005 00BA2510
	v_perm_b32 v67, v5, v4, s52                                // 00000000C91C: D1ED0043 00D20905
	v_cmp_u_f32_e64 s[46:47], v84, v84                         // 00000000C924: D048002E 0002A954
	v_add3_u32 v16, v84, v19, 1                                // 00000000C92C: D1FF0010 02062754
	v_cndmask_b32_e64 v4, v16, v18, s[46:47]                   // 00000000C934: D1000004 00BA2510
	v_cmp_u_f32_e64 s[46:47], v85, v85                         // 00000000C93C: D048002E 0002AB55
	v_add3_u32 v16, v85, v19, 1                                // 00000000C944: D1FF0010 02062755
	v_cndmask_b32_e64 v5, v16, v18, s[46:47]                   // 00000000C94C: D1000005 00BA2510
	v_perm_b32 v68, v5, v4, s52                                // 00000000C954: D1ED0044 00D20905
	v_cmp_u_f32_e64 s[46:47], v86, v86                         // 00000000C95C: D048002E 0002AD56
	v_add3_u32 v16, v86, v19, 1                                // 00000000C964: D1FF0010 02062756
	v_cndmask_b32_e64 v4, v16, v18, s[46:47]                   // 00000000C96C: D1000004 00BA2510
	v_cmp_u_f32_e64 s[46:47], v87, v87                         // 00000000C974: D048002E 0002AF57
	v_add3_u32 v16, v87, v19, 1                                // 00000000C97C: D1FF0010 02062757
	v_cndmask_b32_e64 v5, v16, v18, s[46:47]                   // 00000000C984: D1000005 00BA2510
	v_perm_b32 v69, v5, v4, s52                                // 00000000C98C: D1ED0045 00D20905
	v_cmp_u_f32_e64 s[46:47], v88, v88                         // 00000000C994: D048002E 0002B158
	v_add3_u32 v16, v88, v19, 1                                // 00000000C99C: D1FF0010 02062758
	v_cndmask_b32_e64 v4, v16, v18, s[46:47]                   // 00000000C9A4: D1000004 00BA2510
	v_cmp_u_f32_e64 s[46:47], v89, v89                         // 00000000C9AC: D048002E 0002B359
	v_add3_u32 v16, v89, v19, 1                                // 00000000C9B4: D1FF0010 02062759
	v_cndmask_b32_e64 v5, v16, v18, s[46:47]                   // 00000000C9BC: D1000005 00BA2510
	v_perm_b32 v70, v5, v4, s52                                // 00000000C9C4: D1ED0046 00D20905
	v_cmp_u_f32_e64 s[46:47], v90, v90                         // 00000000C9CC: D048002E 0002B55A
	v_add3_u32 v16, v90, v19, 1                                // 00000000C9D4: D1FF0010 0206275A
	v_cndmask_b32_e64 v4, v16, v18, s[46:47]                   // 00000000C9DC: D1000004 00BA2510
	v_cmp_u_f32_e64 s[46:47], v91, v91                         // 00000000C9E4: D048002E 0002B75B
	v_add3_u32 v16, v91, v19, 1                                // 00000000C9EC: D1FF0010 0206275B
	v_cndmask_b32_e64 v5, v16, v18, s[46:47]                   // 00000000C9F4: D1000005 00BA2510
	v_perm_b32 v71, v5, v4, s52                                // 00000000C9FC: D1ED0047 00D20905
	v_cmp_u_f32_e64 s[46:47], v92, v92                         // 00000000CA04: D048002E 0002B95C
	v_add3_u32 v16, v92, v19, 1                                // 00000000CA0C: D1FF0010 0206275C
	v_cndmask_b32_e64 v4, v16, v18, s[46:47]                   // 00000000CA14: D1000004 00BA2510
	v_cmp_u_f32_e64 s[46:47], v93, v93                         // 00000000CA1C: D048002E 0002BB5D
	v_add3_u32 v16, v93, v19, 1                                // 00000000CA24: D1FF0010 0206275D
	v_cndmask_b32_e64 v5, v16, v18, s[46:47]                   // 00000000CA2C: D1000005 00BA2510
	v_perm_b32 v72, v5, v4, s52                                // 00000000CA34: D1ED0048 00D20905
	v_cmp_u_f32_e64 s[46:47], v94, v94                         // 00000000CA3C: D048002E 0002BD5E
	v_add3_u32 v16, v94, v19, 1                                // 00000000CA44: D1FF0010 0206275E
	v_cndmask_b32_e64 v4, v16, v18, s[46:47]                   // 00000000CA4C: D1000004 00BA2510
	v_cmp_u_f32_e64 s[46:47], v95, v95                         // 00000000CA54: D048002E 0002BF5F
	v_add3_u32 v16, v95, v19, 1                                // 00000000CA5C: D1FF0010 0206275F
	v_cndmask_b32_e64 v5, v16, v18, s[46:47]                   // 00000000CA64: D1000005 00BA2510
	v_perm_b32 v73, v5, v4, s52                                // 00000000CA6C: D1ED0049 00D20905
	v_cmp_u_f32_e64 s[46:47], v96, v96                         // 00000000CA74: D048002E 0002C160
	v_add3_u32 v16, v96, v19, 1                                // 00000000CA7C: D1FF0010 02062760
	v_cndmask_b32_e64 v4, v16, v18, s[46:47]                   // 00000000CA84: D1000004 00BA2510
	v_cmp_u_f32_e64 s[46:47], v97, v97                         // 00000000CA8C: D048002E 0002C361
	v_add3_u32 v16, v97, v19, 1                                // 00000000CA94: D1FF0010 02062761
	v_cndmask_b32_e64 v5, v16, v18, s[46:47]                   // 00000000CA9C: D1000005 00BA2510
	v_perm_b32 v74, v5, v4, s52                                // 00000000CAA4: D1ED004A 00D20905
	v_cmp_u_f32_e64 s[46:47], v98, v98                         // 00000000CAAC: D048002E 0002C562
	v_add3_u32 v16, v98, v19, 1                                // 00000000CAB4: D1FF0010 02062762
	v_cndmask_b32_e64 v4, v16, v18, s[46:47]                   // 00000000CABC: D1000004 00BA2510
	v_cmp_u_f32_e64 s[46:47], v99, v99                         // 00000000CAC4: D048002E 0002C763
	v_add3_u32 v16, v99, v19, 1                                // 00000000CACC: D1FF0010 02062763
	v_cndmask_b32_e64 v5, v16, v18, s[46:47]                   // 00000000CAD4: D1000005 00BA2510
	v_perm_b32 v75, v5, v4, s52                                // 00000000CADC: D1ED004B 00D20905
	v_cmp_u_f32_e64 s[46:47], v100, v100                       // 00000000CAE4: D048002E 0002C964
	v_add3_u32 v16, v100, v19, 1                               // 00000000CAEC: D1FF0010 02062764
	v_cndmask_b32_e64 v4, v16, v18, s[46:47]                   // 00000000CAF4: D1000004 00BA2510
	v_cmp_u_f32_e64 s[46:47], v101, v101                       // 00000000CAFC: D048002E 0002CB65
	v_add3_u32 v16, v101, v19, 1                               // 00000000CB04: D1FF0010 02062765
	v_cndmask_b32_e64 v5, v16, v18, s[46:47]                   // 00000000CB0C: D1000005 00BA2510
	v_perm_b32 v76, v5, v4, s52                                // 00000000CB14: D1ED004C 00D20905
	v_cmp_u_f32_e64 s[46:47], v102, v102                       // 00000000CB1C: D048002E 0002CD66
	v_add3_u32 v16, v102, v19, 1                               // 00000000CB24: D1FF0010 02062766
	v_cndmask_b32_e64 v4, v16, v18, s[46:47]                   // 00000000CB2C: D1000004 00BA2510
	v_cmp_u_f32_e64 s[46:47], v103, v103                       // 00000000CB34: D048002E 0002CF67
	v_add3_u32 v16, v103, v19, 1                               // 00000000CB3C: D1FF0010 02062767
	v_cndmask_b32_e64 v5, v16, v18, s[46:47]                   // 00000000CB44: D1000005 00BA2510
	v_perm_b32 v77, v5, v4, s52                                // 00000000CB4C: D1ED004D 00D20905
	v_cmp_u_f32_e64 s[46:47], v104, v104                       // 00000000CB54: D048002E 0002D168
	v_add3_u32 v16, v104, v19, 1                               // 00000000CB5C: D1FF0010 02062768
	v_cndmask_b32_e64 v4, v16, v18, s[46:47]                   // 00000000CB64: D1000004 00BA2510
	v_cmp_u_f32_e64 s[46:47], v105, v105                       // 00000000CB6C: D048002E 0002D369
	v_add3_u32 v16, v105, v19, 1                               // 00000000CB74: D1FF0010 02062769
	v_cndmask_b32_e64 v5, v16, v18, s[46:47]                   // 00000000CB7C: D1000005 00BA2510
	v_perm_b32 v78, v5, v4, s52                                // 00000000CB84: D1ED004E 00D20905
	v_cmp_u_f32_e64 s[46:47], v106, v106                       // 00000000CB8C: D048002E 0002D56A
	v_add3_u32 v16, v106, v19, 1                               // 00000000CB94: D1FF0010 0206276A
	v_cndmask_b32_e64 v4, v16, v18, s[46:47]                   // 00000000CB9C: D1000004 00BA2510
	v_cmp_u_f32_e64 s[46:47], v107, v107                       // 00000000CBA4: D048002E 0002D76B
	v_add3_u32 v16, v107, v19, 1                               // 00000000CBAC: D1FF0010 0206276B
	v_cndmask_b32_e64 v5, v16, v18, s[46:47]                   // 00000000CBB4: D1000005 00BA2510
	v_perm_b32 v79, v5, v4, s52                                // 00000000CBBC: D1ED004F 00D20905
	v_cmp_u_f32_e64 s[46:47], v108, v108                       // 00000000CBC4: D048002E 0002D96C
	v_add3_u32 v16, v108, v19, 1                               // 00000000CBCC: D1FF0010 0206276C
	v_cndmask_b32_e64 v4, v16, v18, s[46:47]                   // 00000000CBD4: D1000004 00BA2510
	v_cmp_u_f32_e64 s[46:47], v109, v109                       // 00000000CBDC: D048002E 0002DB6D
	v_add3_u32 v16, v109, v19, 1                               // 00000000CBE4: D1FF0010 0206276D
	v_cndmask_b32_e64 v5, v16, v18, s[46:47]                   // 00000000CBEC: D1000005 00BA2510
	v_perm_b32 v80, v5, v4, s52                                // 00000000CBF4: D1ED0050 00D20905
	v_cmp_u_f32_e64 s[46:47], v110, v110                       // 00000000CBFC: D048002E 0002DD6E
	v_add3_u32 v16, v110, v19, 1                               // 00000000CC04: D1FF0010 0206276E
	v_cndmask_b32_e64 v4, v16, v18, s[46:47]                   // 00000000CC0C: D1000004 00BA2510
	v_cmp_u_f32_e64 s[46:47], v111, v111                       // 00000000CC14: D048002E 0002DF6F
	v_add3_u32 v16, v111, v19, 1                               // 00000000CC1C: D1FF0010 0206276F
	v_cndmask_b32_e64 v5, v16, v18, s[46:47]                   // 00000000CC24: D1000005 00BA2510
	v_perm_b32 v81, v5, v4, s52                                // 00000000CC2C: D1ED0051 00D20905
	v_cmp_u_f32_e64 s[46:47], v112, v112                       // 00000000CC34: D048002E 0002E170
	v_add3_u32 v16, v112, v19, 1                               // 00000000CC3C: D1FF0010 02062770
	v_cndmask_b32_e64 v4, v16, v18, s[46:47]                   // 00000000CC44: D1000004 00BA2510
	v_cmp_u_f32_e64 s[46:47], v113, v113                       // 00000000CC4C: D048002E 0002E371
	v_add3_u32 v16, v113, v19, 1                               // 00000000CC54: D1FF0010 02062771
	v_cndmask_b32_e64 v5, v16, v18, s[46:47]                   // 00000000CC5C: D1000005 00BA2510
	v_perm_b32 v82, v5, v4, s52                                // 00000000CC64: D1ED0052 00D20905
	v_cmp_u_f32_e64 s[46:47], v114, v114                       // 00000000CC6C: D048002E 0002E572
	v_add3_u32 v16, v114, v19, 1                               // 00000000CC74: D1FF0010 02062772
	v_cndmask_b32_e64 v4, v16, v18, s[46:47]                   // 00000000CC7C: D1000004 00BA2510
	v_cmp_u_f32_e64 s[46:47], v115, v115                       // 00000000CC84: D048002E 0002E773
	v_add3_u32 v16, v115, v19, 1                               // 00000000CC8C: D1FF0010 02062773
	v_cndmask_b32_e64 v5, v16, v18, s[46:47]                   // 00000000CC94: D1000005 00BA2510
	v_perm_b32 v83, v5, v4, s52                                // 00000000CC9C: D1ED0053 00D20905
	ds_write_b64 v20, v[52:53]                                 // 00000000CCA4: D89A0000 00003414
	ds_write_b64 v20, v[54:55] offset:17408                    // 00000000CCAC: D89A4400 00003614
	ds_write_b64 v20, v[56:57] offset:2176                     // 00000000CCB4: D89A0880 00003814
	ds_write_b64 v20, v[58:59] offset:19584                    // 00000000CCBC: D89A4C80 00003A14
	ds_write_b64 v20, v[60:61] offset:4352                     // 00000000CCC4: D89A1100 00003C14
	ds_write_b64 v20, v[62:63] offset:21760                    // 00000000CCCC: D89A5500 00003E14
	ds_write_b64 v20, v[64:65] offset:6528                     // 00000000CCD4: D89A1980 00004014
	ds_write_b64 v20, v[66:67] offset:23936                    // 00000000CCDC: D89A5D80 00004214
	ds_write_b64 v20, v[68:69] offset:8704                     // 00000000CCE4: D89A2200 00004414
	ds_write_b64 v20, v[70:71] offset:26112                    // 00000000CCEC: D89A6600 00004614
	ds_write_b64 v20, v[72:73] offset:10880                    // 00000000CCF4: D89A2A80 00004814
	ds_write_b64 v20, v[74:75] offset:28288                    // 00000000CCFC: D89A6E80 00004A14
	ds_write_b64 v20, v[76:77] offset:13056                    // 00000000CD04: D89A3300 00004C14
	ds_write_b64 v20, v[78:79] offset:30464                    // 00000000CD0C: D89A7700 00004E14
	ds_write_b64 v20, v[80:81] offset:15232                    // 00000000CD14: D89A3B80 00005014
	ds_write_b64 v20, v[82:83] offset:32640                    // 00000000CD1C: D89A7F80 00005214
	v_lshrrev_b32_e32 v4, 5, v0                                // 00000000CD24: 20080085
	v_xor_b32_e32 v5, 1, v4                                    // 00000000CD28: 2A0A0881
	s_mul_i32 s60, s65, 2                                      // 00000000CD2C: 923C8241
	s_cmp_eq_u32 s88, 0                                        // 00000000CD30: BF068058
	s_cselect_b32 s61, 1, 4                                    // 00000000CD34: 853D8481
	s_mul_i32 s60, s61, s60                                    // 00000000CD38: 923C3C3D
	v_readlane_b32 s82, v3, 0                                  // 00000000CD3C: D2890052 00010103
	s_lshr_b32 s61, s82, 24                                    // 00000000CD44: 8F3D9852
	s_and_b32 s82, s82, 0xffffff                               // 00000000CD48: 8652FF52 00FFFFFF
	s_mul_i32 s82, s82, s71                                    // 00000000CD50: 92524752
	s_mul_i32 s61, s60, s61                                    // 00000000CD54: 923D3D3C
	s_add_u32 s82, s82, s61                                    // 00000000CD58: 80523D52
	v_mul_lo_u32 v6, v5, s82                                   // 00000000CD5C: D2850006 0000A505
	v_readlane_b32 s82, v3, 1                                  // 00000000CD64: D2890052 00010303
	s_lshr_b32 s61, s82, 24                                    // 00000000CD6C: 8F3D9852
	s_and_b32 s82, s82, 0xffffff                               // 00000000CD70: 8652FF52 00FFFFFF
	s_mul_i32 s82, s82, s71                                    // 00000000CD78: 92524752
	s_mul_i32 s61, s60, s61                                    // 00000000CD7C: 923D3D3C
	s_add_u32 s82, s82, s61                                    // 00000000CD80: 80523D52
	v_mul_lo_u32 v7, v4, s82                                   // 00000000CD84: D2850007 0000A504
	v_add_u32_e32 v39, v6, v7                                  // 00000000CD8C: 684E0F06
	v_readlane_b32 s82, v3, 2                                  // 00000000CD90: D2890052 00010503
	s_lshr_b32 s61, s82, 24                                    // 00000000CD98: 8F3D9852
	s_and_b32 s82, s82, 0xffffff                               // 00000000CD9C: 8652FF52 00FFFFFF
	s_mul_i32 s82, s82, s71                                    // 00000000CDA4: 92524752
	s_mul_i32 s61, s60, s61                                    // 00000000CDA8: 923D3D3C
	s_add_u32 s82, s82, s61                                    // 00000000CDAC: 80523D52
	v_mul_lo_u32 v6, v5, s82                                   // 00000000CDB0: D2850006 0000A505
	v_readlane_b32 s82, v3, 3                                  // 00000000CDB8: D2890052 00010703
	s_lshr_b32 s61, s82, 24                                    // 00000000CDC0: 8F3D9852
	s_and_b32 s82, s82, 0xffffff                               // 00000000CDC4: 8652FF52 00FFFFFF
	s_mul_i32 s82, s82, s71                                    // 00000000CDCC: 92524752
	s_mul_i32 s61, s60, s61                                    // 00000000CDD0: 923D3D3C
	s_add_u32 s82, s82, s61                                    // 00000000CDD4: 80523D52
	v_mul_lo_u32 v7, v4, s82                                   // 00000000CDD8: D2850007 0000A504
	v_add_u32_e32 v40, v6, v7                                  // 00000000CDE0: 68500F06
	v_readlane_b32 s82, v3, 4                                  // 00000000CDE4: D2890052 00010903
	s_lshr_b32 s61, s82, 24                                    // 00000000CDEC: 8F3D9852
	s_and_b32 s82, s82, 0xffffff                               // 00000000CDF0: 8652FF52 00FFFFFF
	s_mul_i32 s82, s82, s71                                    // 00000000CDF8: 92524752
	s_mul_i32 s61, s60, s61                                    // 00000000CDFC: 923D3D3C
	s_add_u32 s82, s82, s61                                    // 00000000CE00: 80523D52
	v_mul_lo_u32 v6, v5, s82                                   // 00000000CE04: D2850006 0000A505
	v_readlane_b32 s82, v3, 5                                  // 00000000CE0C: D2890052 00010B03
	s_lshr_b32 s61, s82, 24                                    // 00000000CE14: 8F3D9852
	s_and_b32 s82, s82, 0xffffff                               // 00000000CE18: 8652FF52 00FFFFFF
	s_mul_i32 s82, s82, s71                                    // 00000000CE20: 92524752
	s_mul_i32 s61, s60, s61                                    // 00000000CE24: 923D3D3C
	s_add_u32 s82, s82, s61                                    // 00000000CE28: 80523D52
	v_mul_lo_u32 v7, v4, s82                                   // 00000000CE2C: D2850007 0000A504
	v_add_u32_e32 v41, v6, v7                                  // 00000000CE34: 68520F06
	v_readlane_b32 s82, v3, 6                                  // 00000000CE38: D2890052 00010D03
	s_lshr_b32 s61, s82, 24                                    // 00000000CE40: 8F3D9852
	s_and_b32 s82, s82, 0xffffff                               // 00000000CE44: 8652FF52 00FFFFFF
	s_mul_i32 s82, s82, s71                                    // 00000000CE4C: 92524752
	s_mul_i32 s61, s60, s61                                    // 00000000CE50: 923D3D3C
	s_add_u32 s82, s82, s61                                    // 00000000CE54: 80523D52
	v_mul_lo_u32 v6, v5, s82                                   // 00000000CE58: D2850006 0000A505
	v_readlane_b32 s82, v3, 7                                  // 00000000CE60: D2890052 00010F03
	s_lshr_b32 s61, s82, 24                                    // 00000000CE68: 8F3D9852
	s_and_b32 s82, s82, 0xffffff                               // 00000000CE6C: 8652FF52 00FFFFFF
	s_mul_i32 s82, s82, s71                                    // 00000000CE74: 92524752
	s_mul_i32 s61, s60, s61                                    // 00000000CE78: 923D3D3C
	s_add_u32 s82, s82, s61                                    // 00000000CE7C: 80523D52
	v_mul_lo_u32 v7, v4, s82                                   // 00000000CE80: D2850007 0000A504
	v_add_u32_e32 v42, v6, v7                                  // 00000000CE88: 68540F06
	v_and_b32_e32 v4, 31, v0                                   // 00000000CE8C: 2608009F
	v_lshrrev_b32_e32 v4, 1, v4                                // 00000000CE90: 20080881
	s_cmp_eq_u32 s88, 0                                        // 00000000CE94: BF068058
	s_cselect_b32 s61, 2, 4                                    // 00000000CE98: 853D8482
	v_mul_lo_u32 v4, v4, s61                                   // 00000000CE9C: D2850004 00007B04
	v_and_b32_e64 v5, v0, 1                                    // 00000000CEA4: D1130005 00010300
	v_add_u32_e32 v4, v4, v5                                   // 00000000CEAC: 68080B04
	v_lshlrev_b32_e32 v4, 2, v4                                // 00000000CEB0: 24080882
	v_add_u32_e32 v39, v39, v4                                 // 00000000CEB4: 684E0927
	v_add_u32_e32 v40, v40, v4                                 // 00000000CEB8: 68500928
	v_add_u32_e32 v41, v41, v4                                 // 00000000CEBC: 68520929
	v_add_u32_e32 v42, v42, v4                                 // 00000000CEC0: 6854092A
	s_waitcnt lgkmcnt(0)                                       // 00000000CEC4: BF8CC07F
	s_barrier                                                  // 00000000CEC8: BF8A0000
	ds_read_b32 v52, v21                                       // 00000000CECC: D86C0000 34000015
	ds_read_b32 v53, v21 offset:64                             // 00000000CED4: D86C0040 35000015
	ds_read_b32 v54, v21 offset:2176                           // 00000000CEDC: D86C0880 36000015
	ds_read_b32 v55, v21 offset:2240                           // 00000000CEE4: D86C08C0 37000015
	ds_read_b32 v56, v21 offset:4352                           // 00000000CEEC: D86C1100 38000015
	ds_read_b32 v57, v21 offset:4416                           // 00000000CEF4: D86C1140 39000015
	ds_read_b32 v58, v21 offset:6528                           // 00000000CEFC: D86C1980 3A000015
	ds_read_b32 v59, v21 offset:6592                           // 00000000CF04: D86C19C0 3B000015
	ds_read_b32 v60, v21 offset:8704                           // 00000000CF0C: D86C2200 3C000015
	ds_read_b32 v61, v21 offset:8768                           // 00000000CF14: D86C2240 3D000015
	ds_read_b32 v62, v21 offset:10880                          // 00000000CF1C: D86C2A80 3E000015
	ds_read_b32 v63, v21 offset:10944                          // 00000000CF24: D86C2AC0 3F000015
	ds_read_b32 v64, v21 offset:13056                          // 00000000CF2C: D86C3300 40000015
	ds_read_b32 v65, v21 offset:13120                          // 00000000CF34: D86C3340 41000015
	ds_read_b32 v66, v21 offset:15232                          // 00000000CF3C: D86C3B80 42000015
	ds_read_b32 v67, v21 offset:15296                          // 00000000CF44: D86C3BC0 43000015
	ds_read_b32 v68, v21 offset:17408                          // 00000000CF4C: D86C4400 44000015
	ds_read_b32 v69, v21 offset:17472                          // 00000000CF54: D86C4440 45000015
	ds_read_b32 v70, v21 offset:19584                          // 00000000CF5C: D86C4C80 46000015
	ds_read_b32 v71, v21 offset:19648                          // 00000000CF64: D86C4CC0 47000015
	ds_read_b32 v72, v21 offset:21760                          // 00000000CF6C: D86C5500 48000015
	ds_read_b32 v73, v21 offset:21824                          // 00000000CF74: D86C5540 49000015
	ds_read_b32 v74, v21 offset:23936                          // 00000000CF7C: D86C5D80 4A000015
	ds_read_b32 v75, v21 offset:24000                          // 00000000CF84: D86C5DC0 4B000015
	ds_read_b32 v76, v21 offset:26112                          // 00000000CF8C: D86C6600 4C000015
	ds_read_b32 v77, v21 offset:26176                          // 00000000CF94: D86C6640 4D000015
	ds_read_b32 v78, v21 offset:28288                          // 00000000CF9C: D86C6E80 4E000015
	ds_read_b32 v79, v21 offset:28352                          // 00000000CFA4: D86C6EC0 4F000015
	ds_read_b32 v80, v21 offset:30464                          // 00000000CFAC: D86C7700 50000015
	ds_read_b32 v81, v21 offset:30528                          // 00000000CFB4: D86C7740 51000015
	ds_read_b32 v82, v21 offset:32640                          // 00000000CFBC: D86C7F80 52000015
	ds_read_b32 v83, v21 offset:32704                          // 00000000CFC4: D86C7FC0 53000015
	s_waitcnt lgkmcnt(0)                                       // 00000000CFCC: BF8CC07F
	s_mov_b32 s36, -1                                          // 00000000CFD0: BEA400C1
	s_mov_b32 s37, -1                                          // 00000000CFD4: BEA500C1
	v_mov_b32_e32 v7, 0                                        // 00000000CFD8: 7E0E0280
	s_or_b32 s9, s9, 0x40000                                   // 00000000CFDC: 8709FF09 00040000
	s_mov_b64 exec, s[36:37]                                   // 00000000CFE4: BEFE0124
	v_mov_b32_e32 v6, v39                                      // 00000000CFE8: 7E0C0327
	s_mov_b64 s[60:61], 0                                      // 00000000CFEC: BEBC0180
	v_readlane_b32 s82, v3, 0                                  // 00000000CFF0: D2890052 00010103
	s_and_b32 s82, s82, 0xffffff                               // 00000000CFF8: 8652FF52 00FFFFFF
	s_cmp_lt_u32 s82, s66                                      // 00000000D000: BF0A4252
	s_cselect_b32 s20, s36, s60                                // 00000000D004: 85143C24
	v_readlane_b32 s82, v3, 1                                  // 00000000D008: D2890052 00010303
	s_and_b32 s82, s82, 0xffffff                               // 00000000D010: 8652FF52 00FFFFFF
	s_cmp_lt_u32 s82, s66                                      // 00000000D018: BF0A4252
	s_cselect_b32 s21, s36, s60                                // 00000000D01C: 85153C24
	s_mov_b64 exec, s[20:21]                                   // 00000000D020: BEFE0114
	buffer_store_dword v52, v6, s[8:11], 0 offen               // 00000000D024: E0701000 80023406
	buffer_store_dword v54, v6, s[8:11], 0 offen offset:128    // 00000000D02C: E0701080 80023606
	buffer_store_dword v56, v6, s[8:11], 0 offen offset:256    // 00000000D034: E0701100 80023806
	buffer_store_dword v58, v6, s[8:11], 0 offen offset:384    // 00000000D03C: E0701180 80023A06
	buffer_store_dword v60, v6, s[8:11], 0 offen offset:512    // 00000000D044: E0701200 80023C06
	buffer_store_dword v62, v6, s[8:11], 0 offen offset:640    // 00000000D04C: E0701280 80023E06
	buffer_store_dword v64, v6, s[8:11], 0 offen offset:768    // 00000000D054: E0701300 80024006
	buffer_store_dword v66, v6, s[8:11], 0 offen offset:896    // 00000000D05C: E0701380 80024206
	s_mov_b64 exec, s[36:37]                                   // 00000000D064: BEFE0124
	v_mov_b32_e32 v6, v40                                      // 00000000D068: 7E0C0328
	s_mov_b64 s[60:61], 0                                      // 00000000D06C: BEBC0180
	v_readlane_b32 s82, v3, 2                                  // 00000000D070: D2890052 00010503
	s_and_b32 s82, s82, 0xffffff                               // 00000000D078: 8652FF52 00FFFFFF
	s_cmp_lt_u32 s82, s66                                      // 00000000D080: BF0A4252
	s_cselect_b32 s20, s36, s60                                // 00000000D084: 85143C24
	v_readlane_b32 s82, v3, 3                                  // 00000000D088: D2890052 00010703
	s_and_b32 s82, s82, 0xffffff                               // 00000000D090: 8652FF52 00FFFFFF
	s_cmp_lt_u32 s82, s66                                      // 00000000D098: BF0A4252
	s_cselect_b32 s21, s36, s60                                // 00000000D09C: 85153C24
	s_mov_b64 exec, s[20:21]                                   // 00000000D0A0: BEFE0114
	buffer_store_dword v53, v6, s[8:11], 0 offen               // 00000000D0A4: E0701000 80023506
	buffer_store_dword v55, v6, s[8:11], 0 offen offset:128    // 00000000D0AC: E0701080 80023706
	buffer_store_dword v57, v6, s[8:11], 0 offen offset:256    // 00000000D0B4: E0701100 80023906
	buffer_store_dword v59, v6, s[8:11], 0 offen offset:384    // 00000000D0BC: E0701180 80023B06
	buffer_store_dword v61, v6, s[8:11], 0 offen offset:512    // 00000000D0C4: E0701200 80023D06
	buffer_store_dword v63, v6, s[8:11], 0 offen offset:640    // 00000000D0CC: E0701280 80023F06
	buffer_store_dword v65, v6, s[8:11], 0 offen offset:768    // 00000000D0D4: E0701300 80024106
	buffer_store_dword v67, v6, s[8:11], 0 offen offset:896    // 00000000D0DC: E0701380 80024306
	s_mov_b64 exec, s[36:37]                                   // 00000000D0E4: BEFE0124
	v_mov_b32_e32 v6, v41                                      // 00000000D0E8: 7E0C0329
	s_mov_b64 s[60:61], 0                                      // 00000000D0EC: BEBC0180
	v_readlane_b32 s82, v3, 4                                  // 00000000D0F0: D2890052 00010903
	s_and_b32 s82, s82, 0xffffff                               // 00000000D0F8: 8652FF52 00FFFFFF
	s_cmp_lt_u32 s82, s66                                      // 00000000D100: BF0A4252
	s_cselect_b32 s20, s36, s60                                // 00000000D104: 85143C24
	v_readlane_b32 s82, v3, 5                                  // 00000000D108: D2890052 00010B03
	s_and_b32 s82, s82, 0xffffff                               // 00000000D110: 8652FF52 00FFFFFF
	s_cmp_lt_u32 s82, s66                                      // 00000000D118: BF0A4252
	s_cselect_b32 s21, s36, s60                                // 00000000D11C: 85153C24
	s_mov_b64 exec, s[20:21]                                   // 00000000D120: BEFE0114
	buffer_store_dword v68, v6, s[8:11], 0 offen               // 00000000D124: E0701000 80024406
	buffer_store_dword v70, v6, s[8:11], 0 offen offset:128    // 00000000D12C: E0701080 80024606
	buffer_store_dword v72, v6, s[8:11], 0 offen offset:256    // 00000000D134: E0701100 80024806
	buffer_store_dword v74, v6, s[8:11], 0 offen offset:384    // 00000000D13C: E0701180 80024A06
	buffer_store_dword v76, v6, s[8:11], 0 offen offset:512    // 00000000D144: E0701200 80024C06
	buffer_store_dword v78, v6, s[8:11], 0 offen offset:640    // 00000000D14C: E0701280 80024E06
	buffer_store_dword v80, v6, s[8:11], 0 offen offset:768    // 00000000D154: E0701300 80025006
	buffer_store_dword v82, v6, s[8:11], 0 offen offset:896    // 00000000D15C: E0701380 80025206
	s_mov_b64 exec, s[36:37]                                   // 00000000D164: BEFE0124
	v_mov_b32_e32 v6, v42                                      // 00000000D168: 7E0C032A
	s_mov_b64 s[60:61], 0                                      // 00000000D16C: BEBC0180
	v_readlane_b32 s82, v3, 6                                  // 00000000D170: D2890052 00010D03
	s_and_b32 s82, s82, 0xffffff                               // 00000000D178: 8652FF52 00FFFFFF
	s_cmp_lt_u32 s82, s66                                      // 00000000D180: BF0A4252
	s_cselect_b32 s20, s36, s60                                // 00000000D184: 85143C24
	v_readlane_b32 s82, v3, 7                                  // 00000000D188: D2890052 00010F03
	s_and_b32 s82, s82, 0xffffff                               // 00000000D190: 8652FF52 00FFFFFF
	s_cmp_lt_u32 s82, s66                                      // 00000000D198: BF0A4252
	s_cselect_b32 s21, s36, s60                                // 00000000D19C: 85153C24
	s_mov_b64 exec, s[20:21]                                   // 00000000D1A0: BEFE0114
	buffer_store_dword v69, v6, s[8:11], 0 offen               // 00000000D1A4: E0701000 80024506
	buffer_store_dword v71, v6, s[8:11], 0 offen offset:128    // 00000000D1AC: E0701080 80024706
	buffer_store_dword v73, v6, s[8:11], 0 offen offset:256    // 00000000D1B4: E0701100 80024906
	buffer_store_dword v75, v6, s[8:11], 0 offen offset:384    // 00000000D1BC: E0701180 80024B06
	buffer_store_dword v77, v6, s[8:11], 0 offen offset:512    // 00000000D1C4: E0701200 80024D06
	buffer_store_dword v79, v6, s[8:11], 0 offen offset:640    // 00000000D1CC: E0701280 80024F06
	buffer_store_dword v81, v6, s[8:11], 0 offen offset:768    // 00000000D1D4: E0701300 80025106
	buffer_store_dword v83, v6, s[8:11], 0 offen offset:896    // 00000000D1DC: E0701380 80025306
	s_mov_b64 exec, s[36:37]                                   // 00000000D1E4: BEFE0124
	s_branch label_2E00                                        // 00000000D1E8: BF820402

000000000000d1ec <label_29FE>:
	ds_write_b64 v20, v[52:53]                                 // 00000000D1EC: D89A0000 00003414
	ds_write_b64 v20, v[56:57] offset:17408                    // 00000000D1F4: D89A4400 00003814
	ds_write_b64 v20, v[60:61] offset:2176                     // 00000000D1FC: D89A0880 00003C14
	ds_write_b64 v20, v[64:65] offset:19584                    // 00000000D204: D89A4C80 00004014
	ds_write_b64 v20, v[68:69] offset:4352                     // 00000000D20C: D89A1100 00004414
	ds_write_b64 v20, v[72:73] offset:21760                    // 00000000D214: D89A5500 00004814
	ds_write_b64 v20, v[76:77] offset:6528                     // 00000000D21C: D89A1980 00004C14
	ds_write_b64 v20, v[80:81] offset:23936                    // 00000000D224: D89A5D80 00005014
	ds_write_b64 v20, v[84:85] offset:8704                     // 00000000D22C: D89A2200 00005414
	ds_write_b64 v20, v[88:89] offset:26112                    // 00000000D234: D89A6600 00005814
	ds_write_b64 v20, v[92:93] offset:10880                    // 00000000D23C: D89A2A80 00005C14
	ds_write_b64 v20, v[96:97] offset:28288                    // 00000000D244: D89A6E80 00006014
	ds_write_b64 v20, v[100:101] offset:13056                  // 00000000D24C: D89A3300 00006414
	ds_write_b64 v20, v[104:105] offset:30464                  // 00000000D254: D89A7700 00006814
	ds_write_b64 v20, v[108:109] offset:15232                  // 00000000D25C: D89A3B80 00006C14
	ds_write_b64 v20, v[112:113] offset:32640                  // 00000000D264: D89A7F80 00007014
	v_lshrrev_b32_e32 v4, 5, v0                                // 00000000D26C: 20080085
	v_xor_b32_e32 v5, 1, v4                                    // 00000000D270: 2A0A0881
	s_mul_i32 s60, s65, 2                                      // 00000000D274: 923C8241
	s_cmp_eq_u32 s88, 0                                        // 00000000D278: BF068058
	s_cselect_b32 s61, 1, 4                                    // 00000000D27C: 853D8481
	s_mul_i32 s60, s61, s60                                    // 00000000D280: 923C3C3D
	v_readlane_b32 s82, v3, 0                                  // 00000000D284: D2890052 00010103
	s_lshr_b32 s61, s82, 24                                    // 00000000D28C: 8F3D9852
	s_and_b32 s82, s82, 0xffffff                               // 00000000D290: 8652FF52 00FFFFFF
	s_mul_i32 s82, s82, s71                                    // 00000000D298: 92524752
	s_mul_i32 s61, s60, s61                                    // 00000000D29C: 923D3D3C
	s_add_u32 s82, s82, s61                                    // 00000000D2A0: 80523D52
	v_mul_lo_u32 v6, v5, s82                                   // 00000000D2A4: D2850006 0000A505
	v_readlane_b32 s82, v3, 1                                  // 00000000D2AC: D2890052 00010303
	s_lshr_b32 s61, s82, 24                                    // 00000000D2B4: 8F3D9852
	s_and_b32 s82, s82, 0xffffff                               // 00000000D2B8: 8652FF52 00FFFFFF
	s_mul_i32 s82, s82, s71                                    // 00000000D2C0: 92524752
	s_mul_i32 s61, s60, s61                                    // 00000000D2C4: 923D3D3C
	s_add_u32 s82, s82, s61                                    // 00000000D2C8: 80523D52
	v_mul_lo_u32 v7, v4, s82                                   // 00000000D2CC: D2850007 0000A504
	v_add_u32_e32 v39, v6, v7                                  // 00000000D2D4: 684E0F06
	v_readlane_b32 s82, v3, 2                                  // 00000000D2D8: D2890052 00010503
	s_lshr_b32 s61, s82, 24                                    // 00000000D2E0: 8F3D9852
	s_and_b32 s82, s82, 0xffffff                               // 00000000D2E4: 8652FF52 00FFFFFF
	s_mul_i32 s82, s82, s71                                    // 00000000D2EC: 92524752
	s_mul_i32 s61, s60, s61                                    // 00000000D2F0: 923D3D3C
	s_add_u32 s82, s82, s61                                    // 00000000D2F4: 80523D52
	v_mul_lo_u32 v6, v5, s82                                   // 00000000D2F8: D2850006 0000A505
	v_readlane_b32 s82, v3, 3                                  // 00000000D300: D2890052 00010703
	s_lshr_b32 s61, s82, 24                                    // 00000000D308: 8F3D9852
	s_and_b32 s82, s82, 0xffffff                               // 00000000D30C: 8652FF52 00FFFFFF
	s_mul_i32 s82, s82, s71                                    // 00000000D314: 92524752
	s_mul_i32 s61, s60, s61                                    // 00000000D318: 923D3D3C
	s_add_u32 s82, s82, s61                                    // 00000000D31C: 80523D52
	v_mul_lo_u32 v7, v4, s82                                   // 00000000D320: D2850007 0000A504
	v_add_u32_e32 v40, v6, v7                                  // 00000000D328: 68500F06
	v_readlane_b32 s82, v3, 4                                  // 00000000D32C: D2890052 00010903
	s_lshr_b32 s61, s82, 24                                    // 00000000D334: 8F3D9852
	s_and_b32 s82, s82, 0xffffff                               // 00000000D338: 8652FF52 00FFFFFF
	s_mul_i32 s82, s82, s71                                    // 00000000D340: 92524752
	s_mul_i32 s61, s60, s61                                    // 00000000D344: 923D3D3C
	s_add_u32 s82, s82, s61                                    // 00000000D348: 80523D52
	v_mul_lo_u32 v6, v5, s82                                   // 00000000D34C: D2850006 0000A505
	v_readlane_b32 s82, v3, 5                                  // 00000000D354: D2890052 00010B03
	s_lshr_b32 s61, s82, 24                                    // 00000000D35C: 8F3D9852
	s_and_b32 s82, s82, 0xffffff                               // 00000000D360: 8652FF52 00FFFFFF
	s_mul_i32 s82, s82, s71                                    // 00000000D368: 92524752
	s_mul_i32 s61, s60, s61                                    // 00000000D36C: 923D3D3C
	s_add_u32 s82, s82, s61                                    // 00000000D370: 80523D52
	v_mul_lo_u32 v7, v4, s82                                   // 00000000D374: D2850007 0000A504
	v_add_u32_e32 v41, v6, v7                                  // 00000000D37C: 68520F06
	v_readlane_b32 s82, v3, 6                                  // 00000000D380: D2890052 00010D03
	s_lshr_b32 s61, s82, 24                                    // 00000000D388: 8F3D9852
	s_and_b32 s82, s82, 0xffffff                               // 00000000D38C: 8652FF52 00FFFFFF
	s_mul_i32 s82, s82, s71                                    // 00000000D394: 92524752
	s_mul_i32 s61, s60, s61                                    // 00000000D398: 923D3D3C
	s_add_u32 s82, s82, s61                                    // 00000000D39C: 80523D52
	v_mul_lo_u32 v6, v5, s82                                   // 00000000D3A0: D2850006 0000A505
	v_readlane_b32 s82, v3, 7                                  // 00000000D3A8: D2890052 00010F03
	s_lshr_b32 s61, s82, 24                                    // 00000000D3B0: 8F3D9852
	s_and_b32 s82, s82, 0xffffff                               // 00000000D3B4: 8652FF52 00FFFFFF
	s_mul_i32 s82, s82, s71                                    // 00000000D3BC: 92524752
	s_mul_i32 s61, s60, s61                                    // 00000000D3C0: 923D3D3C
	s_add_u32 s82, s82, s61                                    // 00000000D3C4: 80523D52
	v_mul_lo_u32 v7, v4, s82                                   // 00000000D3C8: D2850007 0000A504
	v_add_u32_e32 v42, v6, v7                                  // 00000000D3D0: 68540F06
	v_and_b32_e32 v4, 31, v0                                   // 00000000D3D4: 2608009F
	v_lshrrev_b32_e32 v4, 1, v4                                // 00000000D3D8: 20080881
	s_cmp_eq_u32 s88, 0                                        // 00000000D3DC: BF068058
	s_cselect_b32 s61, 2, 4                                    // 00000000D3E0: 853D8482
	v_mul_lo_u32 v4, v4, s61                                   // 00000000D3E4: D2850004 00007B04
	v_and_b32_e64 v5, v0, 1                                    // 00000000D3EC: D1130005 00010300
	v_add_u32_e32 v4, v4, v5                                   // 00000000D3F4: 68080B04
	v_lshlrev_b32_e32 v4, 2, v4                                // 00000000D3F8: 24080882
	v_add_u32_e32 v39, v39, v4                                 // 00000000D3FC: 684E0927
	v_add_u32_e32 v40, v40, v4                                 // 00000000D400: 68500928
	v_add_u32_e32 v41, v41, v4                                 // 00000000D404: 68520929
	v_add_u32_e32 v42, v42, v4                                 // 00000000D408: 6854092A
	s_waitcnt lgkmcnt(0)                                       // 00000000D40C: BF8CC07F
	s_barrier                                                  // 00000000D410: BF8A0000
	ds_read_b32 v52, v21                                       // 00000000D414: D86C0000 34000015
	ds_read_b32 v53, v21 offset:64                             // 00000000D41C: D86C0040 35000015
	ds_read_b32 v56, v21 offset:2176                           // 00000000D424: D86C0880 38000015
	ds_read_b32 v57, v21 offset:2240                           // 00000000D42C: D86C08C0 39000015
	ds_read_b32 v60, v21 offset:4352                           // 00000000D434: D86C1100 3C000015
	ds_read_b32 v61, v21 offset:4416                           // 00000000D43C: D86C1140 3D000015
	ds_read_b32 v64, v21 offset:6528                           // 00000000D444: D86C1980 40000015
	ds_read_b32 v65, v21 offset:6592                           // 00000000D44C: D86C19C0 41000015
	ds_read_b32 v68, v21 offset:8704                           // 00000000D454: D86C2200 44000015
	ds_read_b32 v69, v21 offset:8768                           // 00000000D45C: D86C2240 45000015
	ds_read_b32 v72, v21 offset:10880                          // 00000000D464: D86C2A80 48000015
	ds_read_b32 v73, v21 offset:10944                          // 00000000D46C: D86C2AC0 49000015
	ds_read_b32 v76, v21 offset:13056                          // 00000000D474: D86C3300 4C000015
	ds_read_b32 v77, v21 offset:13120                          // 00000000D47C: D86C3340 4D000015
	ds_read_b32 v80, v21 offset:15232                          // 00000000D484: D86C3B80 50000015
	ds_read_b32 v81, v21 offset:15296                          // 00000000D48C: D86C3BC0 51000015
	ds_read_b32 v84, v21 offset:17408                          // 00000000D494: D86C4400 54000015
	ds_read_b32 v85, v21 offset:17472                          // 00000000D49C: D86C4440 55000015
	ds_read_b32 v88, v21 offset:19584                          // 00000000D4A4: D86C4C80 58000015
	ds_read_b32 v89, v21 offset:19648                          // 00000000D4AC: D86C4CC0 59000015
	ds_read_b32 v92, v21 offset:21760                          // 00000000D4B4: D86C5500 5C000015
	ds_read_b32 v93, v21 offset:21824                          // 00000000D4BC: D86C5540 5D000015
	ds_read_b32 v96, v21 offset:23936                          // 00000000D4C4: D86C5D80 60000015
	ds_read_b32 v97, v21 offset:24000                          // 00000000D4CC: D86C5DC0 61000015
	ds_read_b32 v100, v21 offset:26112                         // 00000000D4D4: D86C6600 64000015
	ds_read_b32 v101, v21 offset:26176                         // 00000000D4DC: D86C6640 65000015
	ds_read_b32 v104, v21 offset:28288                         // 00000000D4E4: D86C6E80 68000015
	ds_read_b32 v105, v21 offset:28352                         // 00000000D4EC: D86C6EC0 69000015
	ds_read_b32 v108, v21 offset:30464                         // 00000000D4F4: D86C7700 6C000015
	ds_read_b32 v109, v21 offset:30528                         // 00000000D4FC: D86C7740 6D000015
	ds_read_b32 v112, v21 offset:32640                         // 00000000D504: D86C7F80 70000015
	ds_read_b32 v113, v21 offset:32704                         // 00000000D50C: D86C7FC0 71000015
	s_waitcnt lgkmcnt(0)                                       // 00000000D514: BF8CC07F
	s_mov_b32 s36, -1                                          // 00000000D518: BEA400C1
	s_mov_b32 s37, -1                                          // 00000000D51C: BEA500C1
	v_mov_b32_e32 v7, 0                                        // 00000000D520: 7E0E0280
	s_mov_b64 exec, s[36:37]                                   // 00000000D524: BEFE0124
	v_mov_b32_e32 v6, v39                                      // 00000000D528: 7E0C0327
	s_mov_b64 s[60:61], 0                                      // 00000000D52C: BEBC0180
	v_readlane_b32 s82, v3, 0                                  // 00000000D530: D2890052 00010103
	s_and_b32 s82, s82, 0xffffff                               // 00000000D538: 8652FF52 00FFFFFF
	s_cmp_lt_u32 s82, s66                                      // 00000000D540: BF0A4252
	s_cselect_b32 s20, s36, s60                                // 00000000D544: 85143C24
	v_readlane_b32 s82, v3, 1                                  // 00000000D548: D2890052 00010303
	s_and_b32 s82, s82, 0xffffff                               // 00000000D550: 8652FF52 00FFFFFF
	s_cmp_lt_u32 s82, s66                                      // 00000000D558: BF0A4252
	s_cselect_b32 s21, s36, s60                                // 00000000D55C: 85153C24
	s_mov_b64 exec, s[20:21]                                   // 00000000D560: BEFE0114
	global_atomic_add_f32 v6, v52, s[8:9]                      // 00000000D564: DD348000 00083406
	global_atomic_add_f32 v6, v56, s[8:9] offset:256           // 00000000D56C: DD348100 00083806
	global_atomic_add_f32 v6, v60, s[8:9] offset:512           // 00000000D574: DD348200 00083C06
	global_atomic_add_f32 v6, v64, s[8:9] offset:768           // 00000000D57C: DD348300 00084006
	global_atomic_add_f32 v6, v68, s[8:9] offset:1024          // 00000000D584: DD348400 00084406
	global_atomic_add_f32 v6, v72, s[8:9] offset:1280          // 00000000D58C: DD348500 00084806
	global_atomic_add_f32 v6, v76, s[8:9] offset:1536          // 00000000D594: DD348600 00084C06
	global_atomic_add_f32 v6, v80, s[8:9] offset:1792          // 00000000D59C: DD348700 00085006
	s_mov_b64 exec, s[36:37]                                   // 00000000D5A4: BEFE0124
	v_mov_b32_e32 v6, v40                                      // 00000000D5A8: 7E0C0328
	s_mov_b64 s[60:61], 0                                      // 00000000D5AC: BEBC0180
	v_readlane_b32 s82, v3, 2                                  // 00000000D5B0: D2890052 00010503
	s_and_b32 s82, s82, 0xffffff                               // 00000000D5B8: 8652FF52 00FFFFFF
	s_cmp_lt_u32 s82, s66                                      // 00000000D5C0: BF0A4252
	s_cselect_b32 s20, s36, s60                                // 00000000D5C4: 85143C24
	v_readlane_b32 s82, v3, 3                                  // 00000000D5C8: D2890052 00010703
	s_and_b32 s82, s82, 0xffffff                               // 00000000D5D0: 8652FF52 00FFFFFF
	s_cmp_lt_u32 s82, s66                                      // 00000000D5D8: BF0A4252
	s_cselect_b32 s21, s36, s60                                // 00000000D5DC: 85153C24
	s_mov_b64 exec, s[20:21]                                   // 00000000D5E0: BEFE0114
	global_atomic_add_f32 v6, v53, s[8:9]                      // 00000000D5E4: DD348000 00083506
	global_atomic_add_f32 v6, v57, s[8:9] offset:256           // 00000000D5EC: DD348100 00083906
	global_atomic_add_f32 v6, v61, s[8:9] offset:512           // 00000000D5F4: DD348200 00083D06
	global_atomic_add_f32 v6, v65, s[8:9] offset:768           // 00000000D5FC: DD348300 00084106
	global_atomic_add_f32 v6, v69, s[8:9] offset:1024          // 00000000D604: DD348400 00084506
	global_atomic_add_f32 v6, v73, s[8:9] offset:1280          // 00000000D60C: DD348500 00084906
	global_atomic_add_f32 v6, v77, s[8:9] offset:1536          // 00000000D614: DD348600 00084D06
	global_atomic_add_f32 v6, v81, s[8:9] offset:1792          // 00000000D61C: DD348700 00085106
	s_mov_b64 exec, s[36:37]                                   // 00000000D624: BEFE0124
	v_mov_b32_e32 v6, v41                                      // 00000000D628: 7E0C0329
	s_mov_b64 s[60:61], 0                                      // 00000000D62C: BEBC0180
	v_readlane_b32 s82, v3, 4                                  // 00000000D630: D2890052 00010903
	s_and_b32 s82, s82, 0xffffff                               // 00000000D638: 8652FF52 00FFFFFF
	s_cmp_lt_u32 s82, s66                                      // 00000000D640: BF0A4252
	s_cselect_b32 s20, s36, s60                                // 00000000D644: 85143C24
	v_readlane_b32 s82, v3, 5                                  // 00000000D648: D2890052 00010B03
	s_and_b32 s82, s82, 0xffffff                               // 00000000D650: 8652FF52 00FFFFFF
	s_cmp_lt_u32 s82, s66                                      // 00000000D658: BF0A4252
	s_cselect_b32 s21, s36, s60                                // 00000000D65C: 85153C24
	s_mov_b64 exec, s[20:21]                                   // 00000000D660: BEFE0114
	global_atomic_add_f32 v6, v84, s[8:9]                      // 00000000D664: DD348000 00085406
	global_atomic_add_f32 v6, v88, s[8:9] offset:256           // 00000000D66C: DD348100 00085806
	global_atomic_add_f32 v6, v92, s[8:9] offset:512           // 00000000D674: DD348200 00085C06
	global_atomic_add_f32 v6, v96, s[8:9] offset:768           // 00000000D67C: DD348300 00086006
	global_atomic_add_f32 v6, v100, s[8:9] offset:1024         // 00000000D684: DD348400 00086406
	global_atomic_add_f32 v6, v104, s[8:9] offset:1280         // 00000000D68C: DD348500 00086806
	global_atomic_add_f32 v6, v108, s[8:9] offset:1536         // 00000000D694: DD348600 00086C06
	global_atomic_add_f32 v6, v112, s[8:9] offset:1792         // 00000000D69C: DD348700 00087006
	s_mov_b64 exec, s[36:37]                                   // 00000000D6A4: BEFE0124
	v_mov_b32_e32 v6, v42                                      // 00000000D6A8: 7E0C032A
	s_mov_b64 s[60:61], 0                                      // 00000000D6AC: BEBC0180
	v_readlane_b32 s82, v3, 6                                  // 00000000D6B0: D2890052 00010D03
	s_and_b32 s82, s82, 0xffffff                               // 00000000D6B8: 8652FF52 00FFFFFF
	s_cmp_lt_u32 s82, s66                                      // 00000000D6C0: BF0A4252
	s_cselect_b32 s20, s36, s60                                // 00000000D6C4: 85143C24
	v_readlane_b32 s82, v3, 7                                  // 00000000D6C8: D2890052 00010F03
	s_and_b32 s82, s82, 0xffffff                               // 00000000D6D0: 8652FF52 00FFFFFF
	s_cmp_lt_u32 s82, s66                                      // 00000000D6D8: BF0A4252
	s_cselect_b32 s21, s36, s60                                // 00000000D6DC: 85153C24
	s_mov_b64 exec, s[20:21]                                   // 00000000D6E0: BEFE0114
	global_atomic_add_f32 v6, v85, s[8:9]                      // 00000000D6E4: DD348000 00085506
	global_atomic_add_f32 v6, v89, s[8:9] offset:256           // 00000000D6EC: DD348100 00085906
	global_atomic_add_f32 v6, v93, s[8:9] offset:512           // 00000000D6F4: DD348200 00085D06
	global_atomic_add_f32 v6, v97, s[8:9] offset:768           // 00000000D6FC: DD348300 00086106
	global_atomic_add_f32 v6, v101, s[8:9] offset:1024         // 00000000D704: DD348400 00086506
	global_atomic_add_f32 v6, v105, s[8:9] offset:1280         // 00000000D70C: DD348500 00086906
	global_atomic_add_f32 v6, v109, s[8:9] offset:1536         // 00000000D714: DD348600 00086D06
	global_atomic_add_f32 v6, v113, s[8:9] offset:1792         // 00000000D71C: DD348700 00087106
	s_mov_b64 exec, s[36:37]                                   // 00000000D724: BEFE0124
	ds_write_b64 v20, v[54:55]                                 // 00000000D728: D89A0000 00003614
	ds_write_b64 v20, v[58:59] offset:17408                    // 00000000D730: D89A4400 00003A14
	ds_write_b64 v20, v[62:63] offset:2176                     // 00000000D738: D89A0880 00003E14
	ds_write_b64 v20, v[66:67] offset:19584                    // 00000000D740: D89A4C80 00004214
	ds_write_b64 v20, v[70:71] offset:4352                     // 00000000D748: D89A1100 00004614
	ds_write_b64 v20, v[74:75] offset:21760                    // 00000000D750: D89A5500 00004A14
	ds_write_b64 v20, v[78:79] offset:6528                     // 00000000D758: D89A1980 00004E14
	ds_write_b64 v20, v[82:83] offset:23936                    // 00000000D760: D89A5D80 00005214
	ds_write_b64 v20, v[86:87] offset:8704                     // 00000000D768: D89A2200 00005614
	ds_write_b64 v20, v[90:91] offset:26112                    // 00000000D770: D89A6600 00005A14
	ds_write_b64 v20, v[94:95] offset:10880                    // 00000000D778: D89A2A80 00005E14
	ds_write_b64 v20, v[98:99] offset:28288                    // 00000000D780: D89A6E80 00006214
	ds_write_b64 v20, v[102:103] offset:13056                  // 00000000D788: D89A3300 00006614
	ds_write_b64 v20, v[106:107] offset:30464                  // 00000000D790: D89A7700 00006A14
	ds_write_b64 v20, v[110:111] offset:15232                  // 00000000D798: D89A3B80 00006E14
	ds_write_b64 v20, v[114:115] offset:32640                  // 00000000D7A0: D89A7F80 00007214
	s_waitcnt lgkmcnt(0)                                       // 00000000D7A8: BF8CC07F
	s_barrier                                                  // 00000000D7AC: BF8A0000
	ds_read_b32 v54, v21                                       // 00000000D7B0: D86C0000 36000015
	ds_read_b32 v55, v21 offset:64                             // 00000000D7B8: D86C0040 37000015
	ds_read_b32 v58, v21 offset:2176                           // 00000000D7C0: D86C0880 3A000015
	ds_read_b32 v59, v21 offset:2240                           // 00000000D7C8: D86C08C0 3B000015
	ds_read_b32 v62, v21 offset:4352                           // 00000000D7D0: D86C1100 3E000015
	ds_read_b32 v63, v21 offset:4416                           // 00000000D7D8: D86C1140 3F000015
	ds_read_b32 v66, v21 offset:6528                           // 00000000D7E0: D86C1980 42000015
	ds_read_b32 v67, v21 offset:6592                           // 00000000D7E8: D86C19C0 43000015
	ds_read_b32 v70, v21 offset:8704                           // 00000000D7F0: D86C2200 46000015
	ds_read_b32 v71, v21 offset:8768                           // 00000000D7F8: D86C2240 47000015
	ds_read_b32 v74, v21 offset:10880                          // 00000000D800: D86C2A80 4A000015
	ds_read_b32 v75, v21 offset:10944                          // 00000000D808: D86C2AC0 4B000015
	ds_read_b32 v78, v21 offset:13056                          // 00000000D810: D86C3300 4E000015
	ds_read_b32 v79, v21 offset:13120                          // 00000000D818: D86C3340 4F000015
	ds_read_b32 v82, v21 offset:15232                          // 00000000D820: D86C3B80 52000015
	ds_read_b32 v83, v21 offset:15296                          // 00000000D828: D86C3BC0 53000015
	ds_read_b32 v86, v21 offset:17408                          // 00000000D830: D86C4400 56000015
	ds_read_b32 v87, v21 offset:17472                          // 00000000D838: D86C4440 57000015
	ds_read_b32 v90, v21 offset:19584                          // 00000000D840: D86C4C80 5A000015
	ds_read_b32 v91, v21 offset:19648                          // 00000000D848: D86C4CC0 5B000015
	ds_read_b32 v94, v21 offset:21760                          // 00000000D850: D86C5500 5E000015
	ds_read_b32 v95, v21 offset:21824                          // 00000000D858: D86C5540 5F000015
	ds_read_b32 v98, v21 offset:23936                          // 00000000D860: D86C5D80 62000015
	ds_read_b32 v99, v21 offset:24000                          // 00000000D868: D86C5DC0 63000015
	ds_read_b32 v102, v21 offset:26112                         // 00000000D870: D86C6600 66000015
	ds_read_b32 v103, v21 offset:26176                         // 00000000D878: D86C6640 67000015
	ds_read_b32 v106, v21 offset:28288                         // 00000000D880: D86C6E80 6A000015
	ds_read_b32 v107, v21 offset:28352                         // 00000000D888: D86C6EC0 6B000015
	ds_read_b32 v110, v21 offset:30464                         // 00000000D890: D86C7700 6E000015
	ds_read_b32 v111, v21 offset:30528                         // 00000000D898: D86C7740 6F000015
	ds_read_b32 v114, v21 offset:32640                         // 00000000D8A0: D86C7F80 72000015
	ds_read_b32 v115, v21 offset:32704                         // 00000000D8A8: D86C7FC0 73000015
	s_waitcnt lgkmcnt(0)                                       // 00000000D8B0: BF8CC07F
	v_mov_b32_e32 v7, 0                                        // 00000000D8B4: 7E0E0280
	s_mov_b64 exec, s[36:37]                                   // 00000000D8B8: BEFE0124
	v_mov_b32_e32 v6, v39                                      // 00000000D8BC: 7E0C0327
	s_mov_b64 s[60:61], 0                                      // 00000000D8C0: BEBC0180
	v_readlane_b32 s82, v3, 0                                  // 00000000D8C4: D2890052 00010103
	s_and_b32 s82, s82, 0xffffff                               // 00000000D8CC: 8652FF52 00FFFFFF
	s_cmp_lt_u32 s82, s66                                      // 00000000D8D4: BF0A4252
	s_cselect_b32 s20, s36, s60                                // 00000000D8D8: 85143C24
	v_readlane_b32 s82, v3, 1                                  // 00000000D8DC: D2890052 00010303
	s_and_b32 s82, s82, 0xffffff                               // 00000000D8E4: 8652FF52 00FFFFFF
	s_cmp_lt_u32 s82, s66                                      // 00000000D8EC: BF0A4252
	s_cselect_b32 s21, s36, s60                                // 00000000D8F0: 85153C24
	s_mov_b64 exec, s[20:21]                                   // 00000000D8F4: BEFE0114
	global_atomic_add_f32 v6, v54, s[8:9] offset:8             // 00000000D8F8: DD348008 00083606
	global_atomic_add_f32 v6, v58, s[8:9] offset:264           // 00000000D900: DD348108 00083A06
	global_atomic_add_f32 v6, v62, s[8:9] offset:520           // 00000000D908: DD348208 00083E06
	global_atomic_add_f32 v6, v66, s[8:9] offset:776           // 00000000D910: DD348308 00084206
	global_atomic_add_f32 v6, v70, s[8:9] offset:1032          // 00000000D918: DD348408 00084606
	global_atomic_add_f32 v6, v74, s[8:9] offset:1288          // 00000000D920: DD348508 00084A06
	global_atomic_add_f32 v6, v78, s[8:9] offset:1544          // 00000000D928: DD348608 00084E06
	global_atomic_add_f32 v6, v82, s[8:9] offset:1800          // 00000000D930: DD348708 00085206
	s_mov_b64 exec, s[36:37]                                   // 00000000D938: BEFE0124
	v_mov_b32_e32 v6, v40                                      // 00000000D93C: 7E0C0328
	s_mov_b64 s[60:61], 0                                      // 00000000D940: BEBC0180
	v_readlane_b32 s82, v3, 2                                  // 00000000D944: D2890052 00010503
	s_and_b32 s82, s82, 0xffffff                               // 00000000D94C: 8652FF52 00FFFFFF
	s_cmp_lt_u32 s82, s66                                      // 00000000D954: BF0A4252
	s_cselect_b32 s20, s36, s60                                // 00000000D958: 85143C24
	v_readlane_b32 s82, v3, 3                                  // 00000000D95C: D2890052 00010703
	s_and_b32 s82, s82, 0xffffff                               // 00000000D964: 8652FF52 00FFFFFF
	s_cmp_lt_u32 s82, s66                                      // 00000000D96C: BF0A4252
	s_cselect_b32 s21, s36, s60                                // 00000000D970: 85153C24
	s_mov_b64 exec, s[20:21]                                   // 00000000D974: BEFE0114
	global_atomic_add_f32 v6, v55, s[8:9] offset:8             // 00000000D978: DD348008 00083706
	global_atomic_add_f32 v6, v59, s[8:9] offset:264           // 00000000D980: DD348108 00083B06
	global_atomic_add_f32 v6, v63, s[8:9] offset:520           // 00000000D988: DD348208 00083F06
	global_atomic_add_f32 v6, v67, s[8:9] offset:776           // 00000000D990: DD348308 00084306
	global_atomic_add_f32 v6, v71, s[8:9] offset:1032          // 00000000D998: DD348408 00084706
	global_atomic_add_f32 v6, v75, s[8:9] offset:1288          // 00000000D9A0: DD348508 00084B06
	global_atomic_add_f32 v6, v79, s[8:9] offset:1544          // 00000000D9A8: DD348608 00084F06
	global_atomic_add_f32 v6, v83, s[8:9] offset:1800          // 00000000D9B0: DD348708 00085306
	s_mov_b64 exec, s[36:37]                                   // 00000000D9B8: BEFE0124
	v_mov_b32_e32 v6, v41                                      // 00000000D9BC: 7E0C0329
	s_mov_b64 s[60:61], 0                                      // 00000000D9C0: BEBC0180
	v_readlane_b32 s82, v3, 4                                  // 00000000D9C4: D2890052 00010903
	s_and_b32 s82, s82, 0xffffff                               // 00000000D9CC: 8652FF52 00FFFFFF
	s_cmp_lt_u32 s82, s66                                      // 00000000D9D4: BF0A4252
	s_cselect_b32 s20, s36, s60                                // 00000000D9D8: 85143C24
	v_readlane_b32 s82, v3, 5                                  // 00000000D9DC: D2890052 00010B03
	s_and_b32 s82, s82, 0xffffff                               // 00000000D9E4: 8652FF52 00FFFFFF
	s_cmp_lt_u32 s82, s66                                      // 00000000D9EC: BF0A4252
	s_cselect_b32 s21, s36, s60                                // 00000000D9F0: 85153C24
	s_mov_b64 exec, s[20:21]                                   // 00000000D9F4: BEFE0114
	global_atomic_add_f32 v6, v86, s[8:9] offset:8             // 00000000D9F8: DD348008 00085606
	global_atomic_add_f32 v6, v90, s[8:9] offset:264           // 00000000DA00: DD348108 00085A06
	global_atomic_add_f32 v6, v94, s[8:9] offset:520           // 00000000DA08: DD348208 00085E06
	global_atomic_add_f32 v6, v98, s[8:9] offset:776           // 00000000DA10: DD348308 00086206
	global_atomic_add_f32 v6, v102, s[8:9] offset:1032         // 00000000DA18: DD348408 00086606
	global_atomic_add_f32 v6, v106, s[8:9] offset:1288         // 00000000DA20: DD348508 00086A06
	global_atomic_add_f32 v6, v110, s[8:9] offset:1544         // 00000000DA28: DD348608 00086E06
	global_atomic_add_f32 v6, v114, s[8:9] offset:1800         // 00000000DA30: DD348708 00087206
	s_mov_b64 exec, s[36:37]                                   // 00000000DA38: BEFE0124
	v_mov_b32_e32 v6, v42                                      // 00000000DA3C: 7E0C032A
	s_mov_b64 s[60:61], 0                                      // 00000000DA40: BEBC0180
	v_readlane_b32 s82, v3, 6                                  // 00000000DA44: D2890052 00010D03
	s_and_b32 s82, s82, 0xffffff                               // 00000000DA4C: 8652FF52 00FFFFFF
	s_cmp_lt_u32 s82, s66                                      // 00000000DA54: BF0A4252
	s_cselect_b32 s20, s36, s60                                // 00000000DA58: 85143C24
	v_readlane_b32 s82, v3, 7                                  // 00000000DA5C: D2890052 00010F03
	s_and_b32 s82, s82, 0xffffff                               // 00000000DA64: 8652FF52 00FFFFFF
	s_cmp_lt_u32 s82, s66                                      // 00000000DA6C: BF0A4252
	s_cselect_b32 s21, s36, s60                                // 00000000DA70: 85153C24
	s_mov_b64 exec, s[20:21]                                   // 00000000DA74: BEFE0114
	global_atomic_add_f32 v6, v87, s[8:9] offset:8             // 00000000DA78: DD348008 00085706
	global_atomic_add_f32 v6, v91, s[8:9] offset:264           // 00000000DA80: DD348108 00085B06
	global_atomic_add_f32 v6, v95, s[8:9] offset:520           // 00000000DA88: DD348208 00085F06
	global_atomic_add_f32 v6, v99, s[8:9] offset:776           // 00000000DA90: DD348308 00086306
	global_atomic_add_f32 v6, v103, s[8:9] offset:1032         // 00000000DA98: DD348408 00086706
	global_atomic_add_f32 v6, v107, s[8:9] offset:1288         // 00000000DAA0: DD348508 00086B06
	global_atomic_add_f32 v6, v111, s[8:9] offset:1544         // 00000000DAA8: DD348608 00086F06
	global_atomic_add_f32 v6, v115, s[8:9] offset:1800         // 00000000DAB0: DD348708 00087306
	s_mov_b64 exec, s[36:37]                                   // 00000000DAB8: BEFE0124
	ds_write_b64 v20, v[116:117]                               // 00000000DABC: D89A0000 00007414
	ds_write_b64 v20, v[120:121] offset:17408                  // 00000000DAC4: D89A4400 00007814
	ds_write_b64 v20, v[124:125] offset:2176                   // 00000000DACC: D89A0880 00007C14
	ds_write_b64 v20, v[128:129] offset:19584                  // 00000000DAD4: D89A4C80 00008014
	ds_write_b64 v20, v[132:133] offset:4352                   // 00000000DADC: D89A1100 00008414
	ds_write_b64 v20, v[136:137] offset:21760                  // 00000000DAE4: D89A5500 00008814
	ds_write_b64 v20, v[140:141] offset:6528                   // 00000000DAEC: D89A1980 00008C14
	ds_write_b64 v20, v[144:145] offset:23936                  // 00000000DAF4: D89A5D80 00009014
	ds_write_b64 v20, v[148:149] offset:8704                   // 00000000DAFC: D89A2200 00009414
	ds_write_b64 v20, v[152:153] offset:26112                  // 00000000DB04: D89A6600 00009814
	ds_write_b64 v20, v[156:157] offset:10880                  // 00000000DB0C: D89A2A80 00009C14
	ds_write_b64 v20, v[160:161] offset:28288                  // 00000000DB14: D89A6E80 0000A014
	ds_write_b64 v20, v[164:165] offset:13056                  // 00000000DB1C: D89A3300 0000A414
	ds_write_b64 v20, v[168:169] offset:30464                  // 00000000DB24: D89A7700 0000A814
	ds_write_b64 v20, v[172:173] offset:15232                  // 00000000DB2C: D89A3B80 0000AC14
	ds_write_b64 v20, v[176:177] offset:32640                  // 00000000DB34: D89A7F80 0000B014
	s_waitcnt lgkmcnt(0)                                       // 00000000DB3C: BF8CC07F
	s_barrier                                                  // 00000000DB40: BF8A0000
	ds_read_b32 v116, v21                                      // 00000000DB44: D86C0000 74000015
	ds_read_b32 v117, v21 offset:64                            // 00000000DB4C: D86C0040 75000015
	ds_read_b32 v120, v21 offset:2176                          // 00000000DB54: D86C0880 78000015
	ds_read_b32 v121, v21 offset:2240                          // 00000000DB5C: D86C08C0 79000015
	ds_read_b32 v124, v21 offset:4352                          // 00000000DB64: D86C1100 7C000015
	ds_read_b32 v125, v21 offset:4416                          // 00000000DB6C: D86C1140 7D000015
	ds_read_b32 v128, v21 offset:6528                          // 00000000DB74: D86C1980 80000015
	ds_read_b32 v129, v21 offset:6592                          // 00000000DB7C: D86C19C0 81000015
	ds_read_b32 v132, v21 offset:8704                          // 00000000DB84: D86C2200 84000015
	ds_read_b32 v133, v21 offset:8768                          // 00000000DB8C: D86C2240 85000015
	ds_read_b32 v136, v21 offset:10880                         // 00000000DB94: D86C2A80 88000015
	ds_read_b32 v137, v21 offset:10944                         // 00000000DB9C: D86C2AC0 89000015
	ds_read_b32 v140, v21 offset:13056                         // 00000000DBA4: D86C3300 8C000015
	ds_read_b32 v141, v21 offset:13120                         // 00000000DBAC: D86C3340 8D000015
	ds_read_b32 v144, v21 offset:15232                         // 00000000DBB4: D86C3B80 90000015
	ds_read_b32 v145, v21 offset:15296                         // 00000000DBBC: D86C3BC0 91000015
	ds_read_b32 v148, v21 offset:17408                         // 00000000DBC4: D86C4400 94000015
	ds_read_b32 v149, v21 offset:17472                         // 00000000DBCC: D86C4440 95000015
	ds_read_b32 v152, v21 offset:19584                         // 00000000DBD4: D86C4C80 98000015
	ds_read_b32 v153, v21 offset:19648                         // 00000000DBDC: D86C4CC0 99000015
	ds_read_b32 v156, v21 offset:21760                         // 00000000DBE4: D86C5500 9C000015
	ds_read_b32 v157, v21 offset:21824                         // 00000000DBEC: D86C5540 9D000015
	ds_read_b32 v160, v21 offset:23936                         // 00000000DBF4: D86C5D80 A0000015
	ds_read_b32 v161, v21 offset:24000                         // 00000000DBFC: D86C5DC0 A1000015
	ds_read_b32 v164, v21 offset:26112                         // 00000000DC04: D86C6600 A4000015
	ds_read_b32 v165, v21 offset:26176                         // 00000000DC0C: D86C6640 A5000015
	ds_read_b32 v168, v21 offset:28288                         // 00000000DC14: D86C6E80 A8000015
	ds_read_b32 v169, v21 offset:28352                         // 00000000DC1C: D86C6EC0 A9000015
	ds_read_b32 v172, v21 offset:30464                         // 00000000DC24: D86C7700 AC000015
	ds_read_b32 v173, v21 offset:30528                         // 00000000DC2C: D86C7740 AD000015
	ds_read_b32 v176, v21 offset:32640                         // 00000000DC34: D86C7F80 B0000015
	ds_read_b32 v177, v21 offset:32704                         // 00000000DC3C: D86C7FC0 B1000015
	s_mul_i32 s60, s65, 4                                      // 00000000DC44: 923C8441
	s_add_u32 s8, s60, s8                                      // 00000000DC48: 8008083C
	s_addc_u32 s9, 0, s9                                       // 00000000DC4C: 82090980
	s_waitcnt lgkmcnt(0)                                       // 00000000DC50: BF8CC07F
	v_mov_b32_e32 v7, 0                                        // 00000000DC54: 7E0E0280
	s_mov_b64 exec, s[36:37]                                   // 00000000DC58: BEFE0124
	v_mov_b32_e32 v6, v39                                      // 00000000DC5C: 7E0C0327
	s_mov_b64 s[60:61], 0                                      // 00000000DC60: BEBC0180
	v_readlane_b32 s82, v3, 0                                  // 00000000DC64: D2890052 00010103
	s_and_b32 s82, s82, 0xffffff                               // 00000000DC6C: 8652FF52 00FFFFFF
	s_cmp_lt_u32 s82, s66                                      // 00000000DC74: BF0A4252
	s_cselect_b32 s20, s36, s60                                // 00000000DC78: 85143C24
	v_readlane_b32 s82, v3, 1                                  // 00000000DC7C: D2890052 00010303
	s_and_b32 s82, s82, 0xffffff                               // 00000000DC84: 8652FF52 00FFFFFF
	s_cmp_lt_u32 s82, s66                                      // 00000000DC8C: BF0A4252
	s_cselect_b32 s21, s36, s60                                // 00000000DC90: 85153C24
	s_mov_b64 exec, s[20:21]                                   // 00000000DC94: BEFE0114
	global_atomic_add_f32 v6, v116, s[8:9]                     // 00000000DC98: DD348000 00087406
	global_atomic_add_f32 v6, v120, s[8:9] offset:256          // 00000000DCA0: DD348100 00087806
	global_atomic_add_f32 v6, v124, s[8:9] offset:512          // 00000000DCA8: DD348200 00087C06
	global_atomic_add_f32 v6, v128, s[8:9] offset:768          // 00000000DCB0: DD348300 00088006
	global_atomic_add_f32 v6, v132, s[8:9] offset:1024         // 00000000DCB8: DD348400 00088406
	global_atomic_add_f32 v6, v136, s[8:9] offset:1280         // 00000000DCC0: DD348500 00088806
	global_atomic_add_f32 v6, v140, s[8:9] offset:1536         // 00000000DCC8: DD348600 00088C06
	global_atomic_add_f32 v6, v144, s[8:9] offset:1792         // 00000000DCD0: DD348700 00089006
	s_mov_b64 exec, s[36:37]                                   // 00000000DCD8: BEFE0124
	v_mov_b32_e32 v6, v40                                      // 00000000DCDC: 7E0C0328
	s_mov_b64 s[60:61], 0                                      // 00000000DCE0: BEBC0180
	v_readlane_b32 s82, v3, 2                                  // 00000000DCE4: D2890052 00010503
	s_and_b32 s82, s82, 0xffffff                               // 00000000DCEC: 8652FF52 00FFFFFF
	s_cmp_lt_u32 s82, s66                                      // 00000000DCF4: BF0A4252
	s_cselect_b32 s20, s36, s60                                // 00000000DCF8: 85143C24
	v_readlane_b32 s82, v3, 3                                  // 00000000DCFC: D2890052 00010703
	s_and_b32 s82, s82, 0xffffff                               // 00000000DD04: 8652FF52 00FFFFFF
	s_cmp_lt_u32 s82, s66                                      // 00000000DD0C: BF0A4252
	s_cselect_b32 s21, s36, s60                                // 00000000DD10: 85153C24
	s_mov_b64 exec, s[20:21]                                   // 00000000DD14: BEFE0114
	global_atomic_add_f32 v6, v117, s[8:9]                     // 00000000DD18: DD348000 00087506
	global_atomic_add_f32 v6, v121, s[8:9] offset:256          // 00000000DD20: DD348100 00087906
	global_atomic_add_f32 v6, v125, s[8:9] offset:512          // 00000000DD28: DD348200 00087D06
	global_atomic_add_f32 v6, v129, s[8:9] offset:768          // 00000000DD30: DD348300 00088106
	global_atomic_add_f32 v6, v133, s[8:9] offset:1024         // 00000000DD38: DD348400 00088506
	global_atomic_add_f32 v6, v137, s[8:9] offset:1280         // 00000000DD40: DD348500 00088906
	global_atomic_add_f32 v6, v141, s[8:9] offset:1536         // 00000000DD48: DD348600 00088D06
	global_atomic_add_f32 v6, v145, s[8:9] offset:1792         // 00000000DD50: DD348700 00089106
	s_mov_b64 exec, s[36:37]                                   // 00000000DD58: BEFE0124
	v_mov_b32_e32 v6, v41                                      // 00000000DD5C: 7E0C0329
	s_mov_b64 s[60:61], 0                                      // 00000000DD60: BEBC0180
	v_readlane_b32 s82, v3, 4                                  // 00000000DD64: D2890052 00010903
	s_and_b32 s82, s82, 0xffffff                               // 00000000DD6C: 8652FF52 00FFFFFF
	s_cmp_lt_u32 s82, s66                                      // 00000000DD74: BF0A4252
	s_cselect_b32 s20, s36, s60                                // 00000000DD78: 85143C24
	v_readlane_b32 s82, v3, 5                                  // 00000000DD7C: D2890052 00010B03
	s_and_b32 s82, s82, 0xffffff                               // 00000000DD84: 8652FF52 00FFFFFF
	s_cmp_lt_u32 s82, s66                                      // 00000000DD8C: BF0A4252
	s_cselect_b32 s21, s36, s60                                // 00000000DD90: 85153C24
	s_mov_b64 exec, s[20:21]                                   // 00000000DD94: BEFE0114
	global_atomic_add_f32 v6, v148, s[8:9]                     // 00000000DD98: DD348000 00089406
	global_atomic_add_f32 v6, v152, s[8:9] offset:256          // 00000000DDA0: DD348100 00089806
	global_atomic_add_f32 v6, v156, s[8:9] offset:512          // 00000000DDA8: DD348200 00089C06
	global_atomic_add_f32 v6, v160, s[8:9] offset:768          // 00000000DDB0: DD348300 0008A006
	global_atomic_add_f32 v6, v164, s[8:9] offset:1024         // 00000000DDB8: DD348400 0008A406
	global_atomic_add_f32 v6, v168, s[8:9] offset:1280         // 00000000DDC0: DD348500 0008A806
	global_atomic_add_f32 v6, v172, s[8:9] offset:1536         // 00000000DDC8: DD348600 0008AC06
	global_atomic_add_f32 v6, v176, s[8:9] offset:1792         // 00000000DDD0: DD348700 0008B006
	s_mov_b64 exec, s[36:37]                                   // 00000000DDD8: BEFE0124
	v_mov_b32_e32 v6, v42                                      // 00000000DDDC: 7E0C032A
	s_mov_b64 s[60:61], 0                                      // 00000000DDE0: BEBC0180
	v_readlane_b32 s82, v3, 6                                  // 00000000DDE4: D2890052 00010D03
	s_and_b32 s82, s82, 0xffffff                               // 00000000DDEC: 8652FF52 00FFFFFF
	s_cmp_lt_u32 s82, s66                                      // 00000000DDF4: BF0A4252
	s_cselect_b32 s20, s36, s60                                // 00000000DDF8: 85143C24
	v_readlane_b32 s82, v3, 7                                  // 00000000DDFC: D2890052 00010F03
	s_and_b32 s82, s82, 0xffffff                               // 00000000DE04: 8652FF52 00FFFFFF
	s_cmp_lt_u32 s82, s66                                      // 00000000DE0C: BF0A4252
	s_cselect_b32 s21, s36, s60                                // 00000000DE10: 85153C24
	s_mov_b64 exec, s[20:21]                                   // 00000000DE14: BEFE0114
	global_atomic_add_f32 v6, v149, s[8:9]                     // 00000000DE18: DD348000 00089506
	global_atomic_add_f32 v6, v153, s[8:9] offset:256          // 00000000DE20: DD348100 00089906
	global_atomic_add_f32 v6, v157, s[8:9] offset:512          // 00000000DE28: DD348200 00089D06
	global_atomic_add_f32 v6, v161, s[8:9] offset:768          // 00000000DE30: DD348300 0008A106
	global_atomic_add_f32 v6, v165, s[8:9] offset:1024         // 00000000DE38: DD348400 0008A506
	global_atomic_add_f32 v6, v169, s[8:9] offset:1280         // 00000000DE40: DD348500 0008A906
	global_atomic_add_f32 v6, v173, s[8:9] offset:1536         // 00000000DE48: DD348600 0008AD06
	global_atomic_add_f32 v6, v177, s[8:9] offset:1792         // 00000000DE50: DD348700 0008B106
	s_mov_b64 exec, s[36:37]                                   // 00000000DE58: BEFE0124
	ds_write_b64 v20, v[118:119]                               // 00000000DE5C: D89A0000 00007614
	ds_write_b64 v20, v[122:123] offset:17408                  // 00000000DE64: D89A4400 00007A14
	ds_write_b64 v20, v[126:127] offset:2176                   // 00000000DE6C: D89A0880 00007E14
	ds_write_b64 v20, v[130:131] offset:19584                  // 00000000DE74: D89A4C80 00008214
	ds_write_b64 v20, v[134:135] offset:4352                   // 00000000DE7C: D89A1100 00008614
	ds_write_b64 v20, v[138:139] offset:21760                  // 00000000DE84: D89A5500 00008A14
	ds_write_b64 v20, v[142:143] offset:6528                   // 00000000DE8C: D89A1980 00008E14
	ds_write_b64 v20, v[146:147] offset:23936                  // 00000000DE94: D89A5D80 00009214
	ds_write_b64 v20, v[150:151] offset:8704                   // 00000000DE9C: D89A2200 00009614
	ds_write_b64 v20, v[154:155] offset:26112                  // 00000000DEA4: D89A6600 00009A14
	ds_write_b64 v20, v[158:159] offset:10880                  // 00000000DEAC: D89A2A80 00009E14
	ds_write_b64 v20, v[162:163] offset:28288                  // 00000000DEB4: D89A6E80 0000A214
	ds_write_b64 v20, v[166:167] offset:13056                  // 00000000DEBC: D89A3300 0000A614
	ds_write_b64 v20, v[170:171] offset:30464                  // 00000000DEC4: D89A7700 0000AA14
	ds_write_b64 v20, v[174:175] offset:15232                  // 00000000DECC: D89A3B80 0000AE14
	ds_write_b64 v20, v[178:179] offset:32640                  // 00000000DED4: D89A7F80 0000B214
	s_waitcnt lgkmcnt(0)                                       // 00000000DEDC: BF8CC07F
	s_barrier                                                  // 00000000DEE0: BF8A0000
	ds_read_b32 v118, v21                                      // 00000000DEE4: D86C0000 76000015
	ds_read_b32 v119, v21 offset:64                            // 00000000DEEC: D86C0040 77000015
	ds_read_b32 v122, v21 offset:2176                          // 00000000DEF4: D86C0880 7A000015
	ds_read_b32 v123, v21 offset:2240                          // 00000000DEFC: D86C08C0 7B000015
	ds_read_b32 v126, v21 offset:4352                          // 00000000DF04: D86C1100 7E000015
	ds_read_b32 v127, v21 offset:4416                          // 00000000DF0C: D86C1140 7F000015
	ds_read_b32 v130, v21 offset:6528                          // 00000000DF14: D86C1980 82000015
	ds_read_b32 v131, v21 offset:6592                          // 00000000DF1C: D86C19C0 83000015
	ds_read_b32 v134, v21 offset:8704                          // 00000000DF24: D86C2200 86000015
	ds_read_b32 v135, v21 offset:8768                          // 00000000DF2C: D86C2240 87000015
	ds_read_b32 v138, v21 offset:10880                         // 00000000DF34: D86C2A80 8A000015
	ds_read_b32 v139, v21 offset:10944                         // 00000000DF3C: D86C2AC0 8B000015
	ds_read_b32 v142, v21 offset:13056                         // 00000000DF44: D86C3300 8E000015
	ds_read_b32 v143, v21 offset:13120                         // 00000000DF4C: D86C3340 8F000015
	ds_read_b32 v146, v21 offset:15232                         // 00000000DF54: D86C3B80 92000015
	ds_read_b32 v147, v21 offset:15296                         // 00000000DF5C: D86C3BC0 93000015
	ds_read_b32 v150, v21 offset:17408                         // 00000000DF64: D86C4400 96000015
	ds_read_b32 v151, v21 offset:17472                         // 00000000DF6C: D86C4440 97000015
	ds_read_b32 v154, v21 offset:19584                         // 00000000DF74: D86C4C80 9A000015
	ds_read_b32 v155, v21 offset:19648                         // 00000000DF7C: D86C4CC0 9B000015
	ds_read_b32 v158, v21 offset:21760                         // 00000000DF84: D86C5500 9E000015
	ds_read_b32 v159, v21 offset:21824                         // 00000000DF8C: D86C5540 9F000015
	ds_read_b32 v162, v21 offset:23936                         // 00000000DF94: D86C5D80 A2000015
	ds_read_b32 v163, v21 offset:24000                         // 00000000DF9C: D86C5DC0 A3000015
	ds_read_b32 v166, v21 offset:26112                         // 00000000DFA4: D86C6600 A6000015
	ds_read_b32 v167, v21 offset:26176                         // 00000000DFAC: D86C6640 A7000015
	ds_read_b32 v170, v21 offset:28288                         // 00000000DFB4: D86C6E80 AA000015
	ds_read_b32 v171, v21 offset:28352                         // 00000000DFBC: D86C6EC0 AB000015
	ds_read_b32 v174, v21 offset:30464                         // 00000000DFC4: D86C7700 AE000015
	ds_read_b32 v175, v21 offset:30528                         // 00000000DFCC: D86C7740 AF000015
	ds_read_b32 v178, v21 offset:32640                         // 00000000DFD4: D86C7F80 B2000015
	ds_read_b32 v179, v21 offset:32704                         // 00000000DFDC: D86C7FC0 B3000015
	s_waitcnt lgkmcnt(0)                                       // 00000000DFE4: BF8CC07F
	v_mov_b32_e32 v7, 0                                        // 00000000DFE8: 7E0E0280
	s_mov_b64 exec, s[36:37]                                   // 00000000DFEC: BEFE0124
	v_mov_b32_e32 v6, v39                                      // 00000000DFF0: 7E0C0327
	s_mov_b64 s[60:61], 0                                      // 00000000DFF4: BEBC0180
	v_readlane_b32 s82, v3, 0                                  // 00000000DFF8: D2890052 00010103
	s_and_b32 s82, s82, 0xffffff                               // 00000000E000: 8652FF52 00FFFFFF
	s_cmp_lt_u32 s82, s66                                      // 00000000E008: BF0A4252
	s_cselect_b32 s20, s36, s60                                // 00000000E00C: 85143C24
	v_readlane_b32 s82, v3, 1                                  // 00000000E010: D2890052 00010303
	s_and_b32 s82, s82, 0xffffff                               // 00000000E018: 8652FF52 00FFFFFF
	s_cmp_lt_u32 s82, s66                                      // 00000000E020: BF0A4252
	s_cselect_b32 s21, s36, s60                                // 00000000E024: 85153C24
	s_mov_b64 exec, s[20:21]                                   // 00000000E028: BEFE0114
	global_atomic_add_f32 v6, v118, s[8:9] offset:8            // 00000000E02C: DD348008 00087606
	global_atomic_add_f32 v6, v122, s[8:9] offset:264          // 00000000E034: DD348108 00087A06
	global_atomic_add_f32 v6, v126, s[8:9] offset:520          // 00000000E03C: DD348208 00087E06
	global_atomic_add_f32 v6, v130, s[8:9] offset:776          // 00000000E044: DD348308 00088206
	global_atomic_add_f32 v6, v134, s[8:9] offset:1032         // 00000000E04C: DD348408 00088606
	global_atomic_add_f32 v6, v138, s[8:9] offset:1288         // 00000000E054: DD348508 00088A06
	global_atomic_add_f32 v6, v142, s[8:9] offset:1544         // 00000000E05C: DD348608 00088E06
	global_atomic_add_f32 v6, v146, s[8:9] offset:1800         // 00000000E064: DD348708 00089206
	s_mov_b64 exec, s[36:37]                                   // 00000000E06C: BEFE0124
	v_mov_b32_e32 v6, v40                                      // 00000000E070: 7E0C0328
	s_mov_b64 s[60:61], 0                                      // 00000000E074: BEBC0180
	v_readlane_b32 s82, v3, 2                                  // 00000000E078: D2890052 00010503
	s_and_b32 s82, s82, 0xffffff                               // 00000000E080: 8652FF52 00FFFFFF
	s_cmp_lt_u32 s82, s66                                      // 00000000E088: BF0A4252
	s_cselect_b32 s20, s36, s60                                // 00000000E08C: 85143C24
	v_readlane_b32 s82, v3, 3                                  // 00000000E090: D2890052 00010703
	s_and_b32 s82, s82, 0xffffff                               // 00000000E098: 8652FF52 00FFFFFF
	s_cmp_lt_u32 s82, s66                                      // 00000000E0A0: BF0A4252
	s_cselect_b32 s21, s36, s60                                // 00000000E0A4: 85153C24
	s_mov_b64 exec, s[20:21]                                   // 00000000E0A8: BEFE0114
	global_atomic_add_f32 v6, v119, s[8:9] offset:8            // 00000000E0AC: DD348008 00087706
	global_atomic_add_f32 v6, v123, s[8:9] offset:264          // 00000000E0B4: DD348108 00087B06
	global_atomic_add_f32 v6, v127, s[8:9] offset:520          // 00000000E0BC: DD348208 00087F06
	global_atomic_add_f32 v6, v131, s[8:9] offset:776          // 00000000E0C4: DD348308 00088306
	global_atomic_add_f32 v6, v135, s[8:9] offset:1032         // 00000000E0CC: DD348408 00088706
	global_atomic_add_f32 v6, v139, s[8:9] offset:1288         // 00000000E0D4: DD348508 00088B06
	global_atomic_add_f32 v6, v143, s[8:9] offset:1544         // 00000000E0DC: DD348608 00088F06
	global_atomic_add_f32 v6, v147, s[8:9] offset:1800         // 00000000E0E4: DD348708 00089306
	s_mov_b64 exec, s[36:37]                                   // 00000000E0EC: BEFE0124
	v_mov_b32_e32 v6, v41                                      // 00000000E0F0: 7E0C0329
	s_mov_b64 s[60:61], 0                                      // 00000000E0F4: BEBC0180
	v_readlane_b32 s82, v3, 4                                  // 00000000E0F8: D2890052 00010903
	s_and_b32 s82, s82, 0xffffff                               // 00000000E100: 8652FF52 00FFFFFF
	s_cmp_lt_u32 s82, s66                                      // 00000000E108: BF0A4252
	s_cselect_b32 s20, s36, s60                                // 00000000E10C: 85143C24
	v_readlane_b32 s82, v3, 5                                  // 00000000E110: D2890052 00010B03
	s_and_b32 s82, s82, 0xffffff                               // 00000000E118: 8652FF52 00FFFFFF
	s_cmp_lt_u32 s82, s66                                      // 00000000E120: BF0A4252
	s_cselect_b32 s21, s36, s60                                // 00000000E124: 85153C24
	s_mov_b64 exec, s[20:21]                                   // 00000000E128: BEFE0114
	global_atomic_add_f32 v6, v150, s[8:9] offset:8            // 00000000E12C: DD348008 00089606
	global_atomic_add_f32 v6, v154, s[8:9] offset:264          // 00000000E134: DD348108 00089A06
	global_atomic_add_f32 v6, v158, s[8:9] offset:520          // 00000000E13C: DD348208 00089E06
	global_atomic_add_f32 v6, v162, s[8:9] offset:776          // 00000000E144: DD348308 0008A206
	global_atomic_add_f32 v6, v166, s[8:9] offset:1032         // 00000000E14C: DD348408 0008A606
	global_atomic_add_f32 v6, v170, s[8:9] offset:1288         // 00000000E154: DD348508 0008AA06
	global_atomic_add_f32 v6, v174, s[8:9] offset:1544         // 00000000E15C: DD348608 0008AE06
	global_atomic_add_f32 v6, v178, s[8:9] offset:1800         // 00000000E164: DD348708 0008B206
	s_mov_b64 exec, s[36:37]                                   // 00000000E16C: BEFE0124
	v_mov_b32_e32 v6, v42                                      // 00000000E170: 7E0C032A
	s_mov_b64 s[60:61], 0                                      // 00000000E174: BEBC0180
	v_readlane_b32 s82, v3, 6                                  // 00000000E178: D2890052 00010D03
	s_and_b32 s82, s82, 0xffffff                               // 00000000E180: 8652FF52 00FFFFFF
	s_cmp_lt_u32 s82, s66                                      // 00000000E188: BF0A4252
	s_cselect_b32 s20, s36, s60                                // 00000000E18C: 85143C24
	v_readlane_b32 s82, v3, 7                                  // 00000000E190: D2890052 00010F03
	s_and_b32 s82, s82, 0xffffff                               // 00000000E198: 8652FF52 00FFFFFF
	s_cmp_lt_u32 s82, s66                                      // 00000000E1A0: BF0A4252
	s_cselect_b32 s21, s36, s60                                // 00000000E1A4: 85153C24
	s_mov_b64 exec, s[20:21]                                   // 00000000E1A8: BEFE0114
	global_atomic_add_f32 v6, v151, s[8:9] offset:8            // 00000000E1AC: DD348008 00089706
	global_atomic_add_f32 v6, v155, s[8:9] offset:264          // 00000000E1B4: DD348108 00089B06
	global_atomic_add_f32 v6, v159, s[8:9] offset:520          // 00000000E1BC: DD348208 00089F06
	global_atomic_add_f32 v6, v163, s[8:9] offset:776          // 00000000E1C4: DD348308 0008A306
	global_atomic_add_f32 v6, v167, s[8:9] offset:1032         // 00000000E1CC: DD348408 0008A706
	global_atomic_add_f32 v6, v171, s[8:9] offset:1288         // 00000000E1D4: DD348508 0008AB06
	global_atomic_add_f32 v6, v175, s[8:9] offset:1544         // 00000000E1DC: DD348608 0008AF06
	global_atomic_add_f32 v6, v179, s[8:9] offset:1800         // 00000000E1E4: DD348708 0008B306
	s_mov_b64 exec, s[36:37]                                   // 00000000E1EC: BEFE0124
	s_branch label_2E00                                        // 00000000E1F0: BF820000

000000000000e1f4 <label_2E00>:
	s_waitcnt vmcnt(0) expcnt(0) lgkmcnt(0)                    // 00000000E1F4: BF8C0000
	s_endpgm                                                   // 00000000E1F8: BF810000
